;; amdgpu-corpus repo=ROCm/aiter kind=harvested arch=n/a opt=n/a

/root/src/amdgpu-assembly/repos/ROCm__aiter/hsa/gfx950/fmoe_2stages/fmoe_stage1_bf16_pertokenInt8_g1u1_32x256_2tg_pf3.co:	file format elf64-amdgpu

Disassembly of section .text:

0000000000002a00 <_ZN5aiter49fmoe_stage1_bf16_pertokenInt8_g1u1_32x256_2tg_pf3E>:
	s_and_b32 s1, s1, 0xffff                                   // 000000002A00: 8601FF01 0000FFFF
	s_load_dwordx2 s[8:9], s[0:1], 0x0                         // 000000002A08: C0060200 00000000
	s_load_dwordx2 s[20:21], s[0:1], 0x10                      // 000000002A10: C0060500 00000010
	s_load_dwordx2 s[24:25], s[0:1], 0x20                      // 000000002A18: C0060600 00000020
	s_load_dwordx2 s[48:49], s[0:1], 0x30                      // 000000002A20: C0060C00 00000030
	s_load_dwordx2 s[28:29], s[0:1], 0x40                      // 000000002A28: C0060700 00000040
	s_load_dwordx2 s[32:33], s[0:1], 0x50                      // 000000002A30: C0060800 00000050
	s_load_dwordx2 s[36:37], s[0:1], 0x60                      // 000000002A38: C0060900 00000060
	s_load_dwordx2 s[12:13], s[0:1], 0x70                      // 000000002A40: C0060300 00000070
	s_load_dwordx2 s[44:45], s[0:1], 0x80                      // 000000002A48: C0060B00 00000080
	s_mov_b32 s89, 0                                           // 000000002A50: BED90080
	s_load_dword s64, s[0:1], 0x90                             // 000000002A54: C0021000 00000090
	s_load_dword s65, s[0:1], 0xa0                             // 000000002A5C: C0021040 000000A0
	s_load_dword s66, s[0:1], 0xb0                             // 000000002A64: C0021080 000000B0
	s_load_dword s67, s[0:1], 0xc0                             // 000000002A6C: C00210C0 000000C0
	s_load_dword s68, s[0:1], 0xd0                             // 000000002A74: C0021100 000000D0
	s_load_dword s69, s[0:1], 0xe0                             // 000000002A7C: C0021140 000000E0
	s_load_dword s71, s[0:1], 0xf0                             // 000000002A84: C00211C0 000000F0
	s_load_dword s72, s[0:1], 0x100                            // 000000002A8C: C0021200 00000100
	s_load_dword s74, s[0:1], 0x110                            // 000000002A94: C0021280 00000110
	s_load_dword s76, s[0:1], 0x120                            // 000000002A9C: C0021300 00000120
	s_load_dword s56, s[0:1], 0x130                            // 000000002AA4: C0020E00 00000130
	s_load_dword s88, s[0:1], 0x140                            // 000000002AAC: C0021600 00000140
	s_load_dword s89, s[0:1], 0x150                            // 000000002AB4: C0021640 00000150
	v_lshrrev_b32_e32 v1, 10, v0                               // 000000002ABC: 2002008A
	v_lshrrev_b32_e32 v2, 10, v1                               // 000000002AC0: 2004028A
	v_and_b32_e32 v2, 0x3ff, v2                                // 000000002AC4: 260404FF 000003FF
	v_and_b32_e32 v1, 0x3ff, v1                                // 000000002ACC: 260202FF 000003FF
	v_and_b32_e32 v0, 0x3ff, v0                                // 000000002AD4: 260000FF 000003FF
	v_lshrrev_b32_e32 v3, 6, v0                                // 000000002ADC: 20060086
	v_and_b32_e32 v0, 63, v0                                   // 000000002AE0: 260000BF
	s_mov_b32 s2, s2                                           // 000000002AE4: BE820002
	s_mov_b32 s3, s3                                           // 000000002AE8: BE830003
	s_mov_b32 s4, s4                                           // 000000002AEC: BE840004
	v_readfirstlane_b32 s7, v3                                 // 000000002AF0: 7E0E0503
	s_waitcnt lgkmcnt(0)                                       // 000000002AF4: BF8CC07F
	s_and_b32 s49, s49, 0xffff                                 // 000000002AF8: 8631FF31 0000FFFF
	s_load_dword s48, s[48:49], 0x0                            // 000000002B00: C0020C18 00000000
	s_and_b32 s45, s45, 0xffff                                 // 000000002B08: 862DFF2D 0000FFFF
	s_and_b32 s9, s9, 0xffff                                   // 000000002B10: 8609FF09 0000FFFF
	s_mul_i32 s60, s66, s68                                    // 000000002B18: 923C4442
	s_mul_i32 s61, s66, 4                                      // 000000002B1C: 923D8442
	s_mov_b32 s22, s60                                         // 000000002B20: BE96003C
	s_mov_b32 s26, -16                                         // 000000002B24: BE9A00D0
	s_mov_b32 s30, s61                                         // 000000002B28: BE9E003D
	s_mov_b32 s14, 0x80                                        // 000000002B2C: BE8E00FF 00000080
	s_mov_b32 s38, -16                                         // 000000002B34: BEA600D0
	s_mov_b32 s10, -16                                         // 000000002B38: BE8A00D0
	s_mov_b32 s34, 0x400                                       // 000000002B3C: BEA200FF 00000400
	s_mov_b32 s23, 0x20000                                     // 000000002B44: BE9700FF 00020000
	s_mov_b32 s27, 0x20000                                     // 000000002B4C: BE9B00FF 00020000
	s_mov_b32 s31, 0x20000                                     // 000000002B54: BE9F00FF 00020000
	s_mov_b32 s35, 0x20000                                     // 000000002B5C: BEA300FF 00020000
	s_mov_b32 s15, 0x20000                                     // 000000002B64: BE8F00FF 00020000
	s_mov_b32 s39, 0x20000                                     // 000000002B6C: BEA700FF 00020000
	s_mov_b32 s11, 0x20000                                     // 000000002B74: BE8B00FF 00020000
	s_and_b32 s21, s21, 0xffff                                 // 000000002B7C: 8615FF15 0000FFFF
	s_and_b32 s25, s25, 0xffff                                 // 000000002B84: 8619FF19 0000FFFF
	s_and_b32 s29, s29, 0xffff                                 // 000000002B8C: 861DFF1D 0000FFFF
	s_and_b32 s33, s33, 0xffff                                 // 000000002B94: 8621FF21 0000FFFF
	s_and_b32 s13, s13, 0xffff                                 // 000000002B9C: 860DFF0D 0000FFFF
	s_and_b32 s37, s37, 0xffff                                 // 000000002BA4: 8625FF25 0000FFFF
	s_or_b32 s21, s21, 0x40000                                 // 000000002BAC: 8715FF15 00040000
	s_or_b32 s25, s25, 0x40000                                 // 000000002BB4: 8719FF19 00040000
	s_or_b32 s29, s29, 0x40000                                 // 000000002BBC: 871DFF1D 00040000
	s_or_b32 s33, s33, 0x40000                                 // 000000002BC4: 8721FF21 00040000
	s_or_b32 s13, s13, 0x40000                                 // 000000002BCC: 870DFF0D 00040000
	s_or_b32 s37, s37, 0x40000                                 // 000000002BD4: 8725FF25 00040000
	v_accvgpr_write_b32 a127, 0                                // 000000002BDC: D3D9407F 18000080
	v_mov_b32_e32 v111, 0                                      // 000000002BE4: 7EDE0280
	s_waitcnt lgkmcnt(0)                                       // 000000002BE8: BF8CC07F
	s_mul_i32 s60, s3, 32                                      // 000000002BEC: 923CA003
	s_cmp_lt_i32 s60, s48                                      // 000000002BF0: BF04303C
	s_cbranch_scc0 label_1B9E                                  // 000000002BF4: BF841B1D
	s_mov_b32 s80, 0                                           // 000000002BF8: BED00080
	s_lshr_b32 s81, s64, s88                                   // 000000002BFC: 8F515840
	s_mul_i32 s60, s3, 4                                       // 000000002C00: 923C8403
	s_add_u32 s44, s60, s44                                    // 000000002C04: 802C2C3C
	s_addc_u32 s45, 0, s45                                     // 000000002C08: 822D2D80
	s_load_dword s5, s[44:45], 0x0                             // 000000002C0C: C0020156 00000000
	s_mul_i32 s60, s3, 32                                      // 000000002C14: 923CA003
	s_mul_i32 s60, 4, s60                                      // 000000002C18: 923C3C84
	s_add_u32 s12, s60, s12                                    // 000000002C1C: 800C0C3C
	s_addc_u32 s13, 0, s13                                     // 000000002C20: 820D0D80
	v_and_b32_e32 v4, 15, v0                                   // 000000002C24: 2608008F
	v_lshlrev_b32_e32 v4, 2, v4                                // 000000002C28: 24080882
	buffer_load_dword v30, v4, s[12:15], 0 offen               // 000000002C2C: E0501000 80031E04
	v_add_u32_e32 v4, 64, v4                                   // 000000002C34: 680808C0
	buffer_load_dword v31, v4, s[12:15], 0 offen               // 000000002C38: E0501000 80031F04
	v_add_u32_e32 v4, 64, v4                                   // 000000002C40: 680808C0
	s_mul_i32 s60, 4, s7                                       // 000000002C44: 923C0784
	v_lshlrev_b32_e32 v4, 4, v0                                // 000000002C48: 24080084
	v_add_u32_e32 v4, s60, v4                                  // 000000002C4C: 6808083C
	buffer_load_dword v3, v4, s[12:15], 0 offen                // 000000002C50: E0501000 80030304
	v_mov_b32_e32 v48, 0                                       // 000000002C58: 7E600280
	v_mov_b32_e32 v80, 0                                       // 000000002C5C: 7EA00280
	v_mov_b32_e32 v49, 0                                       // 000000002C60: 7E620280
	v_mov_b32_e32 v81, 0                                       // 000000002C64: 7EA20280
	v_mov_b32_e32 v50, 0                                       // 000000002C68: 7E640280
	v_mov_b32_e32 v82, 0                                       // 000000002C6C: 7EA40280
	v_mov_b32_e32 v51, 0                                       // 000000002C70: 7E660280
	v_mov_b32_e32 v83, 0                                       // 000000002C74: 7EA60280
	v_mov_b32_e32 v52, 0                                       // 000000002C78: 7E680280
	v_mov_b32_e32 v84, 0                                       // 000000002C7C: 7EA80280
	v_mov_b32_e32 v53, 0                                       // 000000002C80: 7E6A0280
	v_mov_b32_e32 v85, 0                                       // 000000002C84: 7EAA0280
	v_mov_b32_e32 v54, 0                                       // 000000002C88: 7E6C0280
	v_mov_b32_e32 v86, 0                                       // 000000002C8C: 7EAC0280
	v_mov_b32_e32 v55, 0                                       // 000000002C90: 7E6E0280
	v_mov_b32_e32 v87, 0                                       // 000000002C94: 7EAE0280
	v_mov_b32_e32 v56, 0                                       // 000000002C98: 7E700280
	v_mov_b32_e32 v88, 0                                       // 000000002C9C: 7EB00280
	v_mov_b32_e32 v57, 0                                       // 000000002CA0: 7E720280
	v_mov_b32_e32 v89, 0                                       // 000000002CA4: 7EB20280
	v_mov_b32_e32 v58, 0                                       // 000000002CA8: 7E740280
	v_mov_b32_e32 v90, 0                                       // 000000002CAC: 7EB40280
	v_mov_b32_e32 v59, 0                                       // 000000002CB0: 7E760280
	v_mov_b32_e32 v91, 0                                       // 000000002CB4: 7EB60280
	v_mov_b32_e32 v60, 0                                       // 000000002CB8: 7E780280
	v_mov_b32_e32 v92, 0                                       // 000000002CBC: 7EB80280
	v_mov_b32_e32 v61, 0                                       // 000000002CC0: 7E7A0280
	v_mov_b32_e32 v93, 0                                       // 000000002CC4: 7EBA0280
	v_mov_b32_e32 v62, 0                                       // 000000002CC8: 7E7C0280
	v_mov_b32_e32 v94, 0                                       // 000000002CCC: 7EBC0280
	v_mov_b32_e32 v63, 0                                       // 000000002CD0: 7E7E0280
	v_mov_b32_e32 v95, 0                                       // 000000002CD4: 7EBE0280
	v_mov_b32_e32 v64, 0                                       // 000000002CD8: 7E800280
	v_mov_b32_e32 v96, 0                                       // 000000002CDC: 7EC00280
	v_mov_b32_e32 v65, 0                                       // 000000002CE0: 7E820280
	v_mov_b32_e32 v97, 0                                       // 000000002CE4: 7EC20280
	v_mov_b32_e32 v66, 0                                       // 000000002CE8: 7E840280
	v_mov_b32_e32 v98, 0                                       // 000000002CEC: 7EC40280
	v_mov_b32_e32 v67, 0                                       // 000000002CF0: 7E860280
	v_mov_b32_e32 v99, 0                                       // 000000002CF4: 7EC60280
	v_mov_b32_e32 v68, 0                                       // 000000002CF8: 7E880280
	v_mov_b32_e32 v100, 0                                      // 000000002CFC: 7EC80280
	v_mov_b32_e32 v69, 0                                       // 000000002D00: 7E8A0280
	v_mov_b32_e32 v101, 0                                      // 000000002D04: 7ECA0280
	v_mov_b32_e32 v70, 0                                       // 000000002D08: 7E8C0280
	v_mov_b32_e32 v102, 0                                      // 000000002D0C: 7ECC0280
	v_mov_b32_e32 v71, 0                                       // 000000002D10: 7E8E0280
	v_mov_b32_e32 v103, 0                                      // 000000002D14: 7ECE0280
	v_mov_b32_e32 v72, 0                                       // 000000002D18: 7E900280
	v_mov_b32_e32 v104, 0                                      // 000000002D1C: 7ED00280
	v_mov_b32_e32 v73, 0                                       // 000000002D20: 7E920280
	v_mov_b32_e32 v105, 0                                      // 000000002D24: 7ED20280
	v_mov_b32_e32 v74, 0                                       // 000000002D28: 7E940280
	v_mov_b32_e32 v106, 0                                      // 000000002D2C: 7ED40280
	v_mov_b32_e32 v75, 0                                       // 000000002D30: 7E960280
	v_mov_b32_e32 v107, 0                                      // 000000002D34: 7ED60280
	v_mov_b32_e32 v76, 0                                       // 000000002D38: 7E980280
	v_mov_b32_e32 v108, 0                                      // 000000002D3C: 7ED80280
	v_mov_b32_e32 v77, 0                                       // 000000002D40: 7E9A0280
	v_mov_b32_e32 v109, 0                                      // 000000002D44: 7EDA0280
	v_mov_b32_e32 v78, 0                                       // 000000002D48: 7E9C0280
	v_mov_b32_e32 v110, 0                                      // 000000002D4C: 7EDC0280
	v_mov_b32_e32 v79, 0                                       // 000000002D50: 7E9E0280
	v_mov_b32_e32 v111, 0                                      // 000000002D54: 7EDE0280
	s_mul_i32 s60, s2, 0x200                                   // 000000002D58: 923CFF02 00000200
	s_cmp_eq_u32 s88, 0                                        // 000000002D60: BF068058
	s_cselect_b32 s61, 1, 2                                    // 000000002D64: 853D8281
	s_mul_i32 s60, s60, s61                                    // 000000002D68: 923C3D3C
	s_mov_b32 s90, s8                                          // 000000002D6C: BEDA0008
	s_mov_b32 s91, s9                                          // 000000002D70: BEDB0009
	s_add_u32 s8, s60, s8                                      // 000000002D74: 8008083C
	s_addc_u32 s9, 0, s9                                       // 000000002D78: 82090980
	v_lshrrev_b32_e32 v4, 4, v0                                // 000000002D7C: 20080084
	v_mul_lo_u32 v20, 34, v4                                   // 000000002D80: D2850014 000208A2
	v_and_b32_e32 v4, 15, v0                                   // 000000002D88: 2608008F
	v_mul_lo_u32 v5, 2, v4                                     // 000000002D8C: D2850005 00020882
	v_add_u32_e32 v20, v5, v20                                 // 000000002D94: 68282905
	s_mul_i32 s60, s7, 0x88                                    // 000000002D98: 923CFF07 00000088
	v_add_u32_e32 v20, s60, v20                                // 000000002DA0: 6828283C
	v_lshlrev_b32_e32 v20, 2, v20                              // 000000002DA4: 24282882
	v_and_b32_e32 v4, 31, v0                                   // 000000002DA8: 2608009F
	v_lshrrev_b32_e32 v4, 1, v4                                // 000000002DAC: 20080881
	v_mul_lo_u32 v21, 34, v4                                   // 000000002DB0: D2850015 000208A2
	v_lshrrev_b32_e32 v4, 5, v0                                // 000000002DB8: 20080085
	v_mul_lo_u32 v4, 8, v4                                     // 000000002DBC: D2850004 00020888
	v_add_u32_e32 v21, v21, v4                                 // 000000002DC4: 682A0915
	v_and_b32_e32 v5, 1, v0                                    // 000000002DC8: 260A0081
	v_add_u32_e32 v21, v5, v21                                 // 000000002DCC: 682A2B05
	s_mul_i32 s60, s7, 2                                       // 000000002DD0: 923C8207
	v_add_u32_e32 v21, s60, v21                                // 000000002DD4: 682A2A3C
	v_lshlrev_b32_e32 v21, 2, v21                              // 000000002DD8: 242A2A82
	s_mul_i32 s60, s7, 0x420                                   // 000000002DDC: 923CFF07 00000420
	s_add_u32 s48, 0, s60                                      // 000000002DE4: 80303C80
	s_add_u32 s49, 0x1080, s48                                 // 000000002DE8: 803130FF 00001080
	s_add_u32 s50, 0x1080, s49                                 // 000000002DF0: 803231FF 00001080
	v_lshrrev_b32_e32 v4, 4, v0                                // 000000002DF8: 20080084
	v_lshlrev_b32_e32 v5, 2, v4                                // 000000002DFC: 240A0882
	v_and_b32_e32 v4, 15, v0                                   // 000000002E00: 2608008F
	v_lshrrev_b32_e32 v6, 2, v4                                // 000000002E04: 200C0882
	v_lshlrev_b32_e32 v6, 5, v6                                // 000000002E08: 240C0C85
	v_add_u32_e32 v5, v6, v5                                   // 000000002E0C: 680A0B06
	v_and_b32_e32 v4, 3, v0                                    // 000000002E10: 26080083
	v_mul_u32_u24_e32 v6, 0x108, v4                            // 000000002E14: 100C08FF 00000108
	v_add_u32_e32 v5, v6, v5                                   // 000000002E1C: 680A0B06
	v_lshlrev_b32_e32 v2, 2, v5                                // 000000002E20: 24040A82
	s_waitcnt lgkmcnt(0)                                       // 000000002E24: BF8CC07F
	s_mul_i32 s60, s2, 0x100                                   // 000000002E28: 923CFF02 00000100
	s_mul_i32 s60, s60, s69                                    // 000000002E30: 923C453C
	s_mul_i32 s61, s5, s72                                     // 000000002E34: 923D4805
	s_add_u32 s60, s61, s60                                    // 000000002E38: 803C3C3D
	s_add_u32 s24, s60, s24                                    // 000000002E3C: 8018183C
	s_addc_u32 s25, 0, s25                                     // 000000002E40: 82191980
	s_lshr_b32 s60, s64, s88                                   // 000000002E44: 8F3C5840
	s_mul_i32 s60, s4, s60                                     // 000000002E48: 923C3C04
	s_lshr_b32 s60, s60, 7                                     // 000000002E4C: 8F3C873C
	s_mul_i32 s60, s60, 0x800                                  // 000000002E50: 923CFF3C 00000800
	s_add_u32 s24, s60, s24                                    // 000000002E58: 8018183C
	s_addc_u32 s25, 0, s25                                     // 000000002E5C: 82191980
	s_lshr_b32 s60, s69, s88                                   // 000000002E60: 8F3C5845
	s_mul_i32 s60, s4, s60                                     // 000000002E64: 923C3C04
	s_add_u32 s20, s60, s20                                    // 000000002E68: 8014143C
	s_addc_u32 s21, 0, s21                                     // 000000002E6C: 82151580
	s_mul_i32 s60, s7, 16                                      // 000000002E70: 923C9007
	s_mul_i32 s60, s60, s69                                    // 000000002E74: 923C453C
	v_lshlrev_b32_e32 v42, 4, v0                               // 000000002E78: 24540084
	v_add_u32_e32 v42, s60, v42                                // 000000002E7C: 6854543C
	s_mul_i32 s60, 64, s69                                     // 000000002E80: 923C45C0
	v_add_u32_e32 v43, s60, v42                                // 000000002E84: 6856543C
	v_add_u32_e32 v44, s60, v43                                // 000000002E88: 6858563C
	v_add_u32_e32 v45, s60, v44                                // 000000002E8C: 685A583C
	s_mov_b32 s84, s24                                         // 000000002E90: BED40018
	s_mov_b32 s85, s25                                         // 000000002E94: BED50019
	s_mov_b32 s86, s26                                         // 000000002E98: BED6001A
	s_mov_b32 s87, s27                                         // 000000002E9C: BED7001B
	s_mul_i32 s60, s69, s65                                    // 000000002EA0: 923C4145
	s_add_u32 s84, s60, s84                                    // 000000002EA4: 8054543C
	s_addc_u32 s85, 0, s85                                     // 000000002EA8: 82555580
	v_lshrrev_b32_e32 v4, 4, v0                                // 000000002EAC: 20080084
	v_lshlrev_b32_e32 v5, 2, v4                                // 000000002EB0: 240A0882
	v_and_b32_e32 v4, 15, v0                                   // 000000002EB4: 2608008F
	v_lshrrev_b32_e32 v6, 2, v4                                // 000000002EB8: 200C0882
	v_lshlrev_b32_e32 v6, 6, v6                                // 000000002EBC: 240C0C86
	v_add_u32_e32 v5, v6, v5                                   // 000000002EC0: 680A0B06
	v_and_b32_e32 v4, 3, v0                                    // 000000002EC4: 26080083
	v_add_u32_e32 v5, v4, v5                                   // 000000002EC8: 680A0B04
	v_lshlrev_b32_e32 v22, 2, v5                               // 000000002ECC: 242C0A82
	s_mul_i32 s60, s7, 16                                      // 000000002ED0: 923C9007
	s_mul_i32 s60, s60, 4                                      // 000000002ED4: 923C843C
	v_add_u32_e32 v22, s60, v22                                // 000000002ED8: 682C2C3C
	s_mul_i32 s60, s2, 0x100                                   // 000000002EDC: 923CFF02 00000100
	s_mul_i32 s60, s60, 4                                      // 000000002EE4: 923C843C
	s_mul_i32 s61, s5, s74                                     // 000000002EE8: 923D4A05
	s_add_u32 s61, s61, s60                                    // 000000002EEC: 803D3C3D
	s_add_u32 s32, s61, s32                                    // 000000002EF0: 8020203D
	s_addc_u32 s33, 0, s33                                     // 000000002EF4: 82212180
	s_mov_b32 s57, 0x80                                        // 000000002EF8: BEB900FF 00000080
	s_mov_b32 s58, 0x800                                       // 000000002F00: BEBA00FF 00000800
	s_mov_b32 s83, s58                                         // 000000002F08: BED3003A
	s_mov_b32 s52, 0x7060302                                   // 000000002F0C: BEB400FF 07060302
	s_mov_b32 s53, 0x400                                       // 000000002F14: BEB500FF 00000400
	s_mov_b32 s54, 0x40100                                     // 000000002F1C: BEB600FF 00040100
	s_mov_b32 s55, 0x4020100                                   // 000000002F24: BEB700FF 04020100
	s_mov_b32 s6, 0x3fb8aa3b                                   // 000000002F2C: BE8600FF 3FB8AA3B
	s_mov_b32 s78, 0xbd92220c                                  // 000000002F34: BECE00FF BD92220C
	s_mov_b32 s79, 0xbd92220c                                  // 000000002F3C: BECF00FF BD92220C
	s_mov_b32 m0, s48                                          // 000000002F44: BEFC0030
	v_mov_b32_e32 v1, 0xbfcc4231                               // 000000002F48: 7E0202FF BFCC4231
	v_mov_b32_e32 v17, 0xffff0000                              // 000000002F50: 7E2202FF FFFF0000
	v_mov_b32_e32 v18, 0x7fff0000                              // 000000002F58: 7E2402FF 7FFF0000
	v_mov_b32_e32 v19, 0x7fff                                  // 000000002F60: 7E2602FF 00007FFF
	s_waitcnt vmcnt(0) expcnt(0) lgkmcnt(0)                    // 000000002F68: BF8C0000
	v_lshrrev_b32_e32 v4, 5, v0                                // 000000002F6C: 20080085
	v_xor_b32_e32 v5, 1, v4                                    // 000000002F70: 2A0A0881
	v_readlane_b32 s82, v3, 0                                  // 000000002F74: D2890052 00010103
	s_and_b32 s82, s82, 0xffffff                               // 000000002F7C: 8652FF52 00FFFFFF
	v_mul_lo_u32 v6, v5, s82                                   // 000000002F84: D2850006 0000A505
	v_readlane_b32 s82, v3, 1                                  // 000000002F8C: D2890052 00010303
	s_and_b32 s82, s82, 0xffffff                               // 000000002F94: 8652FF52 00FFFFFF
	v_mul_lo_u32 v7, v4, s82                                   // 000000002F9C: D2850007 0000A504
	v_add_u32_e32 v38, v6, v7                                  // 000000002FA4: 684C0F06
	v_mul_lo_u32 v38, v38, s68                                 // 000000002FA8: D2850026 00008926
	v_readlane_b32 s82, v3, 2                                  // 000000002FB0: D2890052 00010503
	s_and_b32 s82, s82, 0xffffff                               // 000000002FB8: 8652FF52 00FFFFFF
	v_mul_lo_u32 v6, v5, s82                                   // 000000002FC0: D2850006 0000A505
	v_readlane_b32 s82, v3, 3                                  // 000000002FC8: D2890052 00010703
	s_and_b32 s82, s82, 0xffffff                               // 000000002FD0: 8652FF52 00FFFFFF
	v_mul_lo_u32 v7, v4, s82                                   // 000000002FD8: D2850007 0000A504
	v_add_u32_e32 v39, v6, v7                                  // 000000002FE0: 684E0F06
	v_mul_lo_u32 v39, v39, s68                                 // 000000002FE4: D2850027 00008927
	v_readlane_b32 s82, v3, 4                                  // 000000002FEC: D2890052 00010903
	s_and_b32 s82, s82, 0xffffff                               // 000000002FF4: 8652FF52 00FFFFFF
	v_mul_lo_u32 v6, v5, s82                                   // 000000002FFC: D2850006 0000A505
	v_readlane_b32 s82, v3, 5                                  // 000000003004: D2890052 00010B03
	s_and_b32 s82, s82, 0xffffff                               // 00000000300C: 8652FF52 00FFFFFF
	v_mul_lo_u32 v7, v4, s82                                   // 000000003014: D2850007 0000A504
	v_add_u32_e32 v40, v6, v7                                  // 00000000301C: 68500F06
	v_mul_lo_u32 v40, v40, s68                                 // 000000003020: D2850028 00008928
	v_readlane_b32 s82, v3, 6                                  // 000000003028: D2890052 00010D03
	s_and_b32 s82, s82, 0xffffff                               // 000000003030: 8652FF52 00FFFFFF
	v_mul_lo_u32 v6, v5, s82                                   // 000000003038: D2850006 0000A505
	v_readlane_b32 s82, v3, 7                                  // 000000003040: D2890052 00010F03
	s_and_b32 s82, s82, 0xffffff                               // 000000003048: 8652FF52 00FFFFFF
	v_mul_lo_u32 v7, v4, s82                                   // 000000003050: D2850007 0000A504
	v_add_u32_e32 v41, v6, v7                                  // 000000003058: 68520F06
	v_mul_lo_u32 v41, v41, s68                                 // 00000000305C: D2850029 00008929
	v_and_b32_e32 v4, 31, v0                                   // 000000003064: 2608009F
	v_lshlrev_b32_e32 v4, 2, v4                                // 000000003068: 24080882
	v_add_u32_e32 v38, v38, v4                                 // 00000000306C: 684C0926
	v_add_u32_e32 v39, v39, v4                                 // 000000003070: 684E0927
	v_add_u32_e32 v40, v40, v4                                 // 000000003074: 68500928
	v_add_u32_e32 v41, v41, v4                                 // 000000003078: 68520929
	v_and_b32_e32 v30, 0xffffff, v30                           // 00000000307C: 263C3CFF 00FFFFFF
	v_lshlrev_b32_e32 v30, 2, v30                              // 000000003084: 243C3C82
	v_and_b32_e32 v31, 0xffffff, v31                           // 000000003088: 263E3EFF 00FFFFFF
	v_lshlrev_b32_e32 v31, 2, v31                              // 000000003090: 243E3E82
	s_lshl_b32 s3, s66, 2                                      // 000000003094: 8E038242
	buffer_load_dword v32, v30, s[28:31], 0 offen              // 000000003098: E0501000 8007201E
	buffer_load_dword v33, v31, s[28:31], 0 offen              // 0000000030A0: E0501000 8007211F
	buffer_load_dword v24, v22, s[32:35], 0 offen              // 0000000030A8: E0501000 80081816
	s_mul_i32 s60, 4, s65                                      // 0000000030B0: 923C4184
	s_add_u32 s32, s60, s32                                    // 0000000030B4: 8020203C
	s_addc_u32 s33, 0, s33                                     // 0000000030B8: 82212180
	buffer_load_dword v27, v22, s[32:35], 0 offen              // 0000000030BC: E0501000 80081B16
	buffer_load_dword v38, s[20:23], 0 offen lds               // 0000000030C4: E0511000 80050026
	s_add_u32 m0, 0x100, s48                                   // 0000000030CC: 807C30FF 00000100
	buffer_load_dword v39, s[20:23], 0 offen lds               // 0000000030D4: E0511000 80050027
	s_add_u32 m0, 0x200, s48                                   // 0000000030DC: 807C30FF 00000200
	buffer_load_dword v40, s[20:23], 0 offen lds               // 0000000030E4: E0511000 80050028
	s_add_u32 m0, 0x300, s48                                   // 0000000030EC: 807C30FF 00000300
	buffer_load_dword v41, s[20:23], 0 offen lds               // 0000000030F4: E0511000 80050029
	s_add_u32 m0, 0, s49                                       // 0000000030FC: 807C3180
	s_add_u32 s20, s57, s20                                    // 000000003100: 80141439
	s_addc_u32 s21, 0, s21                                     // 000000003104: 82151580
	buffer_load_dwordx4 a[32:35], v42, s[24:27], 0 offen       // 000000003108: E05C1000 8086202A
	buffer_load_dwordx4 a[36:39], v42, s[24:27], 0 offen offset:1024// 000000003110: E05C1400 8086242A
	buffer_load_dwordx4 a[40:43], v43, s[24:27], 0 offen       // 000000003118: E05C1000 8086282B
	buffer_load_dwordx4 a[44:47], v43, s[24:27], 0 offen offset:1024// 000000003120: E05C1400 80862C2B
	buffer_load_dwordx4 a[48:51], v44, s[24:27], 0 offen       // 000000003128: E05C1000 8086302C
	buffer_load_dwordx4 a[52:55], v44, s[24:27], 0 offen offset:1024// 000000003130: E05C1400 8086342C
	buffer_load_dwordx4 a[56:59], v45, s[24:27], 0 offen       // 000000003138: E05C1000 8086382D
	buffer_load_dwordx4 a[60:63], v45, s[24:27], 0 offen offset:1024// 000000003140: E05C1400 80863C2D
	s_add_u32 s24, s58, s24                                    // 000000003148: 8018183A
	s_addc_u32 s25, 0, s25                                     // 00000000314C: 82191980
	buffer_load_dword v38, s[20:23], 0 offen lds               // 000000003150: E0511000 80050026
	s_add_u32 m0, 0x100, s49                                   // 000000003158: 807C31FF 00000100
	buffer_load_dword v39, s[20:23], 0 offen lds               // 000000003160: E0511000 80050027
	s_add_u32 m0, 0x200, s49                                   // 000000003168: 807C31FF 00000200
	;; [unrolled: 2-line block ×3, first 2 shown]
	buffer_load_dword v41, s[20:23], 0 offen lds               // 000000003180: E0511000 80050029
	s_add_u32 m0, 0, s50                                       // 000000003188: 807C3280
	s_add_u32 s20, s57, s20                                    // 00000000318C: 80141439
	s_addc_u32 s21, 0, s21                                     // 000000003190: 82151580
	buffer_load_dwordx4 a[64:67], v42, s[84:87], 0 offen       // 000000003194: E05C1000 8095402A
	buffer_load_dwordx4 a[68:71], v42, s[84:87], 0 offen offset:1024// 00000000319C: E05C1400 8095442A
	buffer_load_dwordx4 a[72:75], v43, s[84:87], 0 offen       // 0000000031A4: E05C1000 8095482B
	buffer_load_dwordx4 a[76:79], v43, s[84:87], 0 offen offset:1024// 0000000031AC: E05C1400 80954C2B
	buffer_load_dwordx4 a[80:83], v44, s[84:87], 0 offen       // 0000000031B4: E05C1000 8095502C
	buffer_load_dwordx4 a[84:87], v44, s[84:87], 0 offen offset:1024// 0000000031BC: E05C1400 8095542C
	buffer_load_dwordx4 a[88:91], v45, s[84:87], 0 offen       // 0000000031C4: E05C1000 8095582D
	buffer_load_dwordx4 a[92:95], v45, s[84:87], 0 offen offset:1024// 0000000031CC: E05C1400 80955C2D
	s_add_u32 s84, s83, s84                                    // 0000000031D4: 80545453
	s_addc_u32 s85, 0, s85                                     // 0000000031D8: 82555580
	s_waitcnt vmcnt(20)                                        // 0000000031DC: BF8C4F74
	s_barrier                                                  // 0000000031E0: BF8A0000
	ds_read_b128 a[0:3], v2                                    // 0000000031E4: DBFE0000 00000002
	ds_read_b128 a[4:7], v2 offset:64                          // 0000000031EC: DBFE0040 04000002
	ds_read_b128 a[8:11], v2 offset:512                        // 0000000031F4: DBFE0200 08000002
	ds_read_b128 a[12:15], v2 offset:576                       // 0000000031FC: DBFE0240 0C000002
	s_cmp_lt_i32 s7, 2                                         // 000000003204: BF048207
	s_cbranch_scc0 label_0ED2                                  // 000000003208: BF840CCC

000000000000320c <label_0203>:
	s_waitcnt vmcnt(12) lgkmcnt(0)                             // 00000000320C: BF8C007C
	v_mfma_i32_16x16x32_i8 v[48:51], a[32:33], a[0:1], v[48:51]// 000000003210: D3D70030 1CC20120
	v_mfma_i32_16x16x32_i8 v[48:51], a[34:35], a[2:3], v[48:51]// 000000003218: D3D70030 1CC20522
	buffer_load_dwordx4 a[96:99], v42, s[24:27], 0 offen       // 000000003220: E05C1000 8086602A
	v_mfma_i32_16x16x32_i8 v[48:51], a[36:37], a[4:5], v[48:51]// 000000003228: D3D70030 1CC20924
	v_mfma_i32_16x16x32_i8 v[48:51], a[38:39], a[6:7], v[48:51]// 000000003230: D3D70030 1CC20D26
	v_mfma_i32_16x16x32_i8 v[56:59], a[40:41], a[0:1], v[56:59]// 000000003238: D3D70038 1CE20128
	v_mfma_i32_16x16x32_i8 v[56:59], a[42:43], a[2:3], v[56:59]// 000000003240: D3D70038 1CE2052A
	buffer_load_dwordx4 a[100:103], v42, s[24:27], 0 offen offset:1024// 000000003248: E05C1400 8086642A
	v_mfma_i32_16x16x32_i8 v[56:59], a[44:45], a[4:5], v[56:59]// 000000003250: D3D70038 1CE2092C
	v_mfma_i32_16x16x32_i8 v[56:59], a[46:47], a[6:7], v[56:59]// 000000003258: D3D70038 1CE20D2E
	v_mfma_i32_16x16x32_i8 v[64:67], a[48:49], a[0:1], v[64:67]// 000000003260: D3D70040 1D020130
	v_mfma_i32_16x16x32_i8 v[64:67], a[50:51], a[2:3], v[64:67]// 000000003268: D3D70040 1D020532
	buffer_load_dwordx4 a[104:107], v43, s[24:27], 0 offen     // 000000003270: E05C1000 8086682B
	v_mfma_i32_16x16x32_i8 v[64:67], a[52:53], a[4:5], v[64:67]// 000000003278: D3D70040 1D020934
	v_mfma_i32_16x16x32_i8 v[64:67], a[54:55], a[6:7], v[64:67]// 000000003280: D3D70040 1D020D36
	v_mfma_i32_16x16x32_i8 v[72:75], a[56:57], a[0:1], v[72:75]// 000000003288: D3D70048 1D220138
	v_mfma_i32_16x16x32_i8 v[72:75], a[58:59], a[2:3], v[72:75]// 000000003290: D3D70048 1D22053A
	buffer_load_dwordx4 a[108:111], v43, s[24:27], 0 offen offset:1024// 000000003298: E05C1400 80866C2B
	v_mfma_i32_16x16x32_i8 v[72:75], a[60:61], a[4:5], v[72:75]// 0000000032A0: D3D70048 1D22093C
	v_mfma_i32_16x16x32_i8 v[72:75], a[62:63], a[6:7], v[72:75]// 0000000032A8: D3D70048 1D220D3E
	v_mfma_i32_16x16x32_i8 v[52:55], a[32:33], a[8:9], v[52:55]// 0000000032B0: D3D70034 1CD21120
	v_mfma_i32_16x16x32_i8 v[52:55], a[34:35], a[10:11], v[52:55]// 0000000032B8: D3D70034 1CD21522
	buffer_load_dwordx4 a[112:115], v44, s[24:27], 0 offen     // 0000000032C0: E05C1000 8086702C
	v_mfma_i32_16x16x32_i8 v[52:55], a[36:37], a[12:13], v[52:55]// 0000000032C8: D3D70034 1CD21924
	v_mfma_i32_16x16x32_i8 v[52:55], a[38:39], a[14:15], v[52:55]// 0000000032D0: D3D70034 1CD21D26
	v_mfma_i32_16x16x32_i8 v[60:63], a[40:41], a[8:9], v[60:63]// 0000000032D8: D3D7003C 1CF21128
	v_mfma_i32_16x16x32_i8 v[60:63], a[42:43], a[10:11], v[60:63]// 0000000032E0: D3D7003C 1CF2152A
	buffer_load_dwordx4 a[116:119], v44, s[24:27], 0 offen offset:1024// 0000000032E8: E05C1400 8086742C
	v_mfma_i32_16x16x32_i8 v[60:63], a[44:45], a[12:13], v[60:63]// 0000000032F0: D3D7003C 1CF2192C
	v_mfma_i32_16x16x32_i8 v[60:63], a[46:47], a[14:15], v[60:63]// 0000000032F8: D3D7003C 1CF21D2E
	v_mfma_i32_16x16x32_i8 v[68:71], a[48:49], a[8:9], v[68:71]// 000000003300: D3D70044 1D121130
	v_mfma_i32_16x16x32_i8 v[68:71], a[50:51], a[10:11], v[68:71]// 000000003308: D3D70044 1D121532
	buffer_load_dwordx4 a[120:123], v45, s[24:27], 0 offen     // 000000003310: E05C1000 8086782D
	v_mfma_i32_16x16x32_i8 v[68:71], a[52:53], a[12:13], v[68:71]// 000000003318: D3D70044 1D121934
	v_mfma_i32_16x16x32_i8 v[68:71], a[54:55], a[14:15], v[68:71]// 000000003320: D3D70044 1D121D36
	v_mfma_i32_16x16x32_i8 v[76:79], a[56:57], a[8:9], v[76:79]// 000000003328: D3D7004C 1D321138
	v_mfma_i32_16x16x32_i8 v[76:79], a[58:59], a[10:11], v[76:79]// 000000003330: D3D7004C 1D32153A
	buffer_load_dwordx4 a[124:127], v45, s[24:27], 0 offen offset:1024// 000000003338: E05C1400 80867C2D
	buffer_load_dword v38, s[20:23], 0 offen lds               // 000000003340: E0511000 80050026
	s_add_u32 m0, 0x100, s50                                   // 000000003348: 807C32FF 00000100
	v_mfma_i32_16x16x32_i8 v[76:79], a[60:61], a[12:13], v[76:79]// 000000003350: D3D7004C 1D32193C
	v_mfma_i32_16x16x32_i8 v[76:79], a[62:63], a[14:15], v[76:79]// 000000003358: D3D7004C 1D321D3E
	buffer_load_dword v39, s[20:23], 0 offen lds               // 000000003360: E0511000 80050027
	s_add_u32 m0, 0x200, s50                                   // 000000003368: 807C32FF 00000200
	buffer_load_dword v40, s[20:23], 0 offen lds               // 000000003370: E0511000 80050028
	s_add_u32 m0, 0x300, s50                                   // 000000003378: 807C32FF 00000300
	buffer_load_dword v41, s[20:23], 0 offen lds               // 000000003380: E0511000 80050029
	s_add_u32 m0, 0, s48                                       // 000000003388: 807C3080
	s_waitcnt vmcnt(12)                                        // 00000000338C: BF8C0F7C
	s_barrier                                                  // 000000003390: BF8A0000
	v_mfma_i32_16x16x32_i8 v[80:83], a[64:65], a[0:1], v[80:83]// 000000003394: D3D70050 1D420140
	v_mfma_i32_16x16x32_i8 v[80:83], a[66:67], a[2:3], v[80:83]// 00000000339C: D3D70050 1D420542
	buffer_load_dwordx4 a[32:35], v42, s[84:87], 0 offen       // 0000000033A4: E05C1000 8095202A
	v_mfma_i32_16x16x32_i8 v[80:83], a[68:69], a[4:5], v[80:83]// 0000000033AC: D3D70050 1D420944
	v_mfma_i32_16x16x32_i8 v[80:83], a[70:71], a[6:7], v[80:83]// 0000000033B4: D3D70050 1D420D46
	ds_read_b128 a[16:19], v2 offset:4224                      // 0000000033BC: DBFE1080 10000002
	ds_read_b128 a[20:23], v2 offset:4288                      // 0000000033C4: DBFE10C0 14000002
	v_mfma_i32_16x16x32_i8 v[88:91], a[72:73], a[0:1], v[88:91]// 0000000033CC: D3D70058 1D620148
	v_mfma_i32_16x16x32_i8 v[88:91], a[74:75], a[2:3], v[88:91]// 0000000033D4: D3D70058 1D62054A
	buffer_load_dwordx4 a[36:39], v42, s[84:87], 0 offen offset:1024// 0000000033DC: E05C1400 8095242A
	v_mfma_i32_16x16x32_i8 v[88:91], a[76:77], a[4:5], v[88:91]// 0000000033E4: D3D70058 1D62094C
	v_mfma_i32_16x16x32_i8 v[88:91], a[78:79], a[6:7], v[88:91]// 0000000033EC: D3D70058 1D620D4E
	ds_read_b128 a[24:27], v2 offset:4736                      // 0000000033F4: DBFE1280 18000002
	ds_read_b128 a[28:31], v2 offset:4800                      // 0000000033FC: DBFE12C0 1C000002
	v_mfma_i32_16x16x32_i8 v[96:99], a[80:81], a[0:1], v[96:99]// 000000003404: D3D70060 1D820150
	v_mfma_i32_16x16x32_i8 v[96:99], a[82:83], a[2:3], v[96:99]// 00000000340C: D3D70060 1D820552
	buffer_load_dwordx4 a[40:43], v43, s[84:87], 0 offen       // 000000003414: E05C1000 8095282B
	v_mfma_i32_16x16x32_i8 v[96:99], a[84:85], a[4:5], v[96:99]// 00000000341C: D3D70060 1D820954
	v_mfma_i32_16x16x32_i8 v[96:99], a[86:87], a[6:7], v[96:99]// 000000003424: D3D70060 1D820D56
	v_mfma_i32_16x16x32_i8 v[104:107], a[88:89], a[0:1], v[104:107]// 00000000342C: D3D70068 1DA20158
	v_mfma_i32_16x16x32_i8 v[104:107], a[90:91], a[2:3], v[104:107]// 000000003434: D3D70068 1DA2055A
	buffer_load_dwordx4 a[44:47], v43, s[84:87], 0 offen offset:1024// 00000000343C: E05C1400 80952C2B
	v_mfma_i32_16x16x32_i8 v[104:107], a[92:93], a[4:5], v[104:107]// 000000003444: D3D70068 1DA2095C
	v_mfma_i32_16x16x32_i8 v[104:107], a[94:95], a[6:7], v[104:107]// 00000000344C: D3D70068 1DA20D5E
	v_mfma_i32_16x16x32_i8 v[84:87], a[64:65], a[8:9], v[84:87]// 000000003454: D3D70054 1D521140
	v_mfma_i32_16x16x32_i8 v[84:87], a[66:67], a[10:11], v[84:87]// 00000000345C: D3D70054 1D521542
	buffer_load_dwordx4 a[48:51], v44, s[84:87], 0 offen       // 000000003464: E05C1000 8095302C
	v_mfma_i32_16x16x32_i8 v[84:87], a[68:69], a[12:13], v[84:87]// 00000000346C: D3D70054 1D521944
	v_mfma_i32_16x16x32_i8 v[84:87], a[70:71], a[14:15], v[84:87]// 000000003474: D3D70054 1D521D46
	v_mfma_i32_16x16x32_i8 v[92:95], a[72:73], a[8:9], v[92:95]// 00000000347C: D3D7005C 1D721148
	v_mfma_i32_16x16x32_i8 v[92:95], a[74:75], a[10:11], v[92:95]// 000000003484: D3D7005C 1D72154A
	buffer_load_dwordx4 a[52:55], v44, s[84:87], 0 offen offset:1024// 00000000348C: E05C1400 8095342C
	v_mfma_i32_16x16x32_i8 v[92:95], a[76:77], a[12:13], v[92:95]// 000000003494: D3D7005C 1D72194C
	v_mfma_i32_16x16x32_i8 v[92:95], a[78:79], a[14:15], v[92:95]// 00000000349C: D3D7005C 1D721D4E
	v_mfma_i32_16x16x32_i8 v[100:103], a[80:81], a[8:9], v[100:103]// 0000000034A4: D3D70064 1D921150
	s_add_u32 s60, 0x180, s80                                  // 0000000034AC: 803C50FF 00000180
	s_cmp_lt_u32 s60, s81                                      // 0000000034B4: BF0A513C
	s_cselect_b32 s57, s57, 0                                  // 0000000034B8: 85398039
	v_mfma_i32_16x16x32_i8 v[100:103], a[82:83], a[10:11], v[100:103]// 0000000034BC: D3D70064 1D921552
	buffer_load_dwordx4 a[56:59], v45, s[84:87], 0 offen       // 0000000034C4: E05C1000 8095382D
	s_add_u32 s60, 0x100, s80                                  // 0000000034CC: 803C50FF 00000100
	s_cmp_lt_u32 s60, s81                                      // 0000000034D4: BF0A513C
	s_cselect_b32 s58, s58, 0                                  // 0000000034D8: 853A803A
	v_mfma_i32_16x16x32_i8 v[100:103], a[84:85], a[12:13], v[100:103]// 0000000034DC: D3D70064 1D921954
	s_add_u32 s60, 0x100, s80                                  // 0000000034E4: 803C50FF 00000100
	s_cmp_lt_u32 s60, s81                                      // 0000000034EC: BF0A513C
	s_cselect_b32 s83, s83, 0                                  // 0000000034F0: 85538053
	v_mfma_i32_16x16x32_i8 v[100:103], a[86:87], a[14:15], v[100:103]// 0000000034F4: D3D70064 1D921D56
	s_add_u32 s24, s58, s24                                    // 0000000034FC: 8018183A
	s_addc_u32 s25, 0, s25                                     // 000000003500: 82191980
	v_mfma_i32_16x16x32_i8 v[108:111], a[88:89], a[8:9], v[108:111]// 000000003504: D3D7006C 1DB21158
	s_add_u32 s20, s57, s20                                    // 00000000350C: 80141439
	s_addc_u32 s21, 0, s21                                     // 000000003510: 82151580
	v_mfma_i32_16x16x32_i8 v[108:111], a[90:91], a[10:11], v[108:111]// 000000003514: D3D7006C 1DB2155A
	buffer_load_dwordx4 a[60:63], v45, s[84:87], 0 offen offset:1024// 00000000351C: E05C1400 80953C2D
	s_add_u32 s84, s83, s84                                    // 000000003524: 80545453
	s_addc_u32 s85, 0, s85                                     // 000000003528: 82555580
	v_mfma_i32_16x16x32_i8 v[108:111], a[92:93], a[12:13], v[108:111]// 00000000352C: D3D7006C 1DB2195C
	v_mfma_i32_16x16x32_i8 v[108:111], a[94:95], a[14:15], v[108:111]// 000000003534: D3D7006C 1DB21D5E
	s_addk_i32 s80, 0x80                                       // 00000000353C: B7500080
	s_cmp_lt_i32 s80, s81                                      // 000000003540: BF045150
	s_cbranch_scc0 label_06DE                                  // 000000003544: BF84040C
	s_waitcnt vmcnt(12) lgkmcnt(0)                             // 000000003548: BF8C007C
	v_mfma_i32_16x16x32_i8 v[48:51], a[96:97], a[16:17], v[48:51]// 00000000354C: D3D70030 1CC22160
	v_mfma_i32_16x16x32_i8 v[48:51], a[98:99], a[18:19], v[48:51]// 000000003554: D3D70030 1CC22562
	buffer_load_dwordx4 a[64:67], v42, s[24:27], 0 offen       // 00000000355C: E05C1000 8086402A
	v_mfma_i32_16x16x32_i8 v[48:51], a[100:101], a[20:21], v[48:51]// 000000003564: D3D70030 1CC22964
	v_mfma_i32_16x16x32_i8 v[48:51], a[102:103], a[22:23], v[48:51]// 00000000356C: D3D70030 1CC22D66
	v_mfma_i32_16x16x32_i8 v[56:59], a[104:105], a[16:17], v[56:59]// 000000003574: D3D70038 1CE22168
	v_mfma_i32_16x16x32_i8 v[56:59], a[106:107], a[18:19], v[56:59]// 00000000357C: D3D70038 1CE2256A
	buffer_load_dwordx4 a[68:71], v42, s[24:27], 0 offen offset:1024// 000000003584: E05C1400 8086442A
	v_mfma_i32_16x16x32_i8 v[56:59], a[108:109], a[20:21], v[56:59]// 00000000358C: D3D70038 1CE2296C
	v_mfma_i32_16x16x32_i8 v[56:59], a[110:111], a[22:23], v[56:59]// 000000003594: D3D70038 1CE22D6E
	v_mfma_i32_16x16x32_i8 v[64:67], a[112:113], a[16:17], v[64:67]// 00000000359C: D3D70040 1D022170
	v_mfma_i32_16x16x32_i8 v[64:67], a[114:115], a[18:19], v[64:67]// 0000000035A4: D3D70040 1D022572
	buffer_load_dwordx4 a[72:75], v43, s[24:27], 0 offen       // 0000000035AC: E05C1000 8086482B
	v_mfma_i32_16x16x32_i8 v[64:67], a[116:117], a[20:21], v[64:67]// 0000000035B4: D3D70040 1D022974
	v_mfma_i32_16x16x32_i8 v[64:67], a[118:119], a[22:23], v[64:67]// 0000000035BC: D3D70040 1D022D76
	v_mfma_i32_16x16x32_i8 v[72:75], a[120:121], a[16:17], v[72:75]// 0000000035C4: D3D70048 1D222178
	v_mfma_i32_16x16x32_i8 v[72:75], a[122:123], a[18:19], v[72:75]// 0000000035CC: D3D70048 1D22257A
	buffer_load_dwordx4 a[76:79], v43, s[24:27], 0 offen offset:1024// 0000000035D4: E05C1400 80864C2B
	v_mfma_i32_16x16x32_i8 v[72:75], a[124:125], a[20:21], v[72:75]// 0000000035DC: D3D70048 1D22297C
	v_mfma_i32_16x16x32_i8 v[72:75], a[126:127], a[22:23], v[72:75]// 0000000035E4: D3D70048 1D222D7E
	v_mfma_i32_16x16x32_i8 v[52:55], a[96:97], a[24:25], v[52:55]// 0000000035EC: D3D70034 1CD23160
	v_mfma_i32_16x16x32_i8 v[52:55], a[98:99], a[26:27], v[52:55]// 0000000035F4: D3D70034 1CD23562
	buffer_load_dwordx4 a[80:83], v44, s[24:27], 0 offen       // 0000000035FC: E05C1000 8086502C
	v_mfma_i32_16x16x32_i8 v[52:55], a[100:101], a[28:29], v[52:55]// 000000003604: D3D70034 1CD23964
	v_mfma_i32_16x16x32_i8 v[52:55], a[102:103], a[30:31], v[52:55]// 00000000360C: D3D70034 1CD23D66
	v_mfma_i32_16x16x32_i8 v[60:63], a[104:105], a[24:25], v[60:63]// 000000003614: D3D7003C 1CF23168
	v_mfma_i32_16x16x32_i8 v[60:63], a[106:107], a[26:27], v[60:63]// 00000000361C: D3D7003C 1CF2356A
	buffer_load_dwordx4 a[84:87], v44, s[24:27], 0 offen offset:1024// 000000003624: E05C1400 8086542C
	v_mfma_i32_16x16x32_i8 v[60:63], a[108:109], a[28:29], v[60:63]// 00000000362C: D3D7003C 1CF2396C
	v_mfma_i32_16x16x32_i8 v[60:63], a[110:111], a[30:31], v[60:63]// 000000003634: D3D7003C 1CF23D6E
	v_mfma_i32_16x16x32_i8 v[68:71], a[112:113], a[24:25], v[68:71]// 00000000363C: D3D70044 1D123170
	v_mfma_i32_16x16x32_i8 v[68:71], a[114:115], a[26:27], v[68:71]// 000000003644: D3D70044 1D123572
	buffer_load_dwordx4 a[88:91], v45, s[24:27], 0 offen       // 00000000364C: E05C1000 8086582D
	v_mfma_i32_16x16x32_i8 v[68:71], a[116:117], a[28:29], v[68:71]// 000000003654: D3D70044 1D123974
	v_mfma_i32_16x16x32_i8 v[68:71], a[118:119], a[30:31], v[68:71]// 00000000365C: D3D70044 1D123D76
	v_mfma_i32_16x16x32_i8 v[76:79], a[120:121], a[24:25], v[76:79]// 000000003664: D3D7004C 1D323178
	v_mfma_i32_16x16x32_i8 v[76:79], a[122:123], a[26:27], v[76:79]// 00000000366C: D3D7004C 1D32357A
	buffer_load_dwordx4 a[92:95], v45, s[24:27], 0 offen offset:1024// 000000003674: E05C1400 80865C2D
	buffer_load_dword v38, s[20:23], 0 offen lds               // 00000000367C: E0511000 80050026
	s_add_u32 m0, 0x100, s48                                   // 000000003684: 807C30FF 00000100
	v_mfma_i32_16x16x32_i8 v[76:79], a[124:125], a[28:29], v[76:79]// 00000000368C: D3D7004C 1D32397C
	v_mfma_i32_16x16x32_i8 v[76:79], a[126:127], a[30:31], v[76:79]// 000000003694: D3D7004C 1D323D7E
	buffer_load_dword v39, s[20:23], 0 offen lds               // 00000000369C: E0511000 80050027
	s_add_u32 m0, 0x200, s48                                   // 0000000036A4: 807C30FF 00000200
	buffer_load_dword v40, s[20:23], 0 offen lds               // 0000000036AC: E0511000 80050028
	s_add_u32 m0, 0x300, s48                                   // 0000000036B4: 807C30FF 00000300
	buffer_load_dword v41, s[20:23], 0 offen lds               // 0000000036BC: E0511000 80050029
	s_add_u32 m0, 0, s49                                       // 0000000036C4: 807C3180
	s_waitcnt vmcnt(12)                                        // 0000000036C8: BF8C0F7C
	s_barrier                                                  // 0000000036CC: BF8A0000
	v_mfma_i32_16x16x32_i8 v[80:83], a[32:33], a[16:17], v[80:83]// 0000000036D0: D3D70050 1D422120
	v_mfma_i32_16x16x32_i8 v[80:83], a[34:35], a[18:19], v[80:83]// 0000000036D8: D3D70050 1D422522
	buffer_load_dwordx4 a[96:99], v42, s[84:87], 0 offen       // 0000000036E0: E05C1000 8095602A
	v_mfma_i32_16x16x32_i8 v[80:83], a[36:37], a[20:21], v[80:83]// 0000000036E8: D3D70050 1D422924
	v_mfma_i32_16x16x32_i8 v[80:83], a[38:39], a[22:23], v[80:83]// 0000000036F0: D3D70050 1D422D26
	ds_read_b128 a[0:3], v2 offset:8448                        // 0000000036F8: DBFE2100 00000002
	ds_read_b128 a[4:7], v2 offset:8512                        // 000000003700: DBFE2140 04000002
	v_mfma_i32_16x16x32_i8 v[88:91], a[40:41], a[16:17], v[88:91]// 000000003708: D3D70058 1D622128
	v_mfma_i32_16x16x32_i8 v[88:91], a[42:43], a[18:19], v[88:91]// 000000003710: D3D70058 1D62252A
	buffer_load_dwordx4 a[100:103], v42, s[84:87], 0 offen offset:1024// 000000003718: E05C1400 8095642A
	v_mfma_i32_16x16x32_i8 v[88:91], a[44:45], a[20:21], v[88:91]// 000000003720: D3D70058 1D62292C
	v_mfma_i32_16x16x32_i8 v[88:91], a[46:47], a[22:23], v[88:91]// 000000003728: D3D70058 1D622D2E
	ds_read_b128 a[8:11], v2 offset:8960                       // 000000003730: DBFE2300 08000002
	ds_read_b128 a[12:15], v2 offset:9024                      // 000000003738: DBFE2340 0C000002
	v_mfma_i32_16x16x32_i8 v[96:99], a[48:49], a[16:17], v[96:99]// 000000003740: D3D70060 1D822130
	v_mfma_i32_16x16x32_i8 v[96:99], a[50:51], a[18:19], v[96:99]// 000000003748: D3D70060 1D822532
	buffer_load_dwordx4 a[104:107], v43, s[84:87], 0 offen     // 000000003750: E05C1000 8095682B
	v_mfma_i32_16x16x32_i8 v[96:99], a[52:53], a[20:21], v[96:99]// 000000003758: D3D70060 1D822934
	v_mfma_i32_16x16x32_i8 v[96:99], a[54:55], a[22:23], v[96:99]// 000000003760: D3D70060 1D822D36
	v_mfma_i32_16x16x32_i8 v[104:107], a[56:57], a[16:17], v[104:107]// 000000003768: D3D70068 1DA22138
	v_mfma_i32_16x16x32_i8 v[104:107], a[58:59], a[18:19], v[104:107]// 000000003770: D3D70068 1DA2253A
	buffer_load_dwordx4 a[108:111], v43, s[84:87], 0 offen offset:1024// 000000003778: E05C1400 80956C2B
	v_mfma_i32_16x16x32_i8 v[104:107], a[60:61], a[20:21], v[104:107]// 000000003780: D3D70068 1DA2293C
	v_mfma_i32_16x16x32_i8 v[104:107], a[62:63], a[22:23], v[104:107]// 000000003788: D3D70068 1DA22D3E
	v_mfma_i32_16x16x32_i8 v[84:87], a[32:33], a[24:25], v[84:87]// 000000003790: D3D70054 1D523120
	v_mfma_i32_16x16x32_i8 v[84:87], a[34:35], a[26:27], v[84:87]// 000000003798: D3D70054 1D523522
	buffer_load_dwordx4 a[112:115], v44, s[84:87], 0 offen     // 0000000037A0: E05C1000 8095702C
	v_mfma_i32_16x16x32_i8 v[84:87], a[36:37], a[28:29], v[84:87]// 0000000037A8: D3D70054 1D523924
	v_mfma_i32_16x16x32_i8 v[84:87], a[38:39], a[30:31], v[84:87]// 0000000037B0: D3D70054 1D523D26
	v_mfma_i32_16x16x32_i8 v[92:95], a[40:41], a[24:25], v[92:95]// 0000000037B8: D3D7005C 1D723128
	v_mfma_i32_16x16x32_i8 v[92:95], a[42:43], a[26:27], v[92:95]// 0000000037C0: D3D7005C 1D72352A
	buffer_load_dwordx4 a[116:119], v44, s[84:87], 0 offen offset:1024// 0000000037C8: E05C1400 8095742C
	v_mfma_i32_16x16x32_i8 v[92:95], a[44:45], a[28:29], v[92:95]// 0000000037D0: D3D7005C 1D72392C
	v_mfma_i32_16x16x32_i8 v[92:95], a[46:47], a[30:31], v[92:95]// 0000000037D8: D3D7005C 1D723D2E
	v_mfma_i32_16x16x32_i8 v[100:103], a[48:49], a[24:25], v[100:103]// 0000000037E0: D3D70064 1D923130
	s_add_u32 s60, 0x180, s80                                  // 0000000037E8: 803C50FF 00000180
	s_cmp_lt_u32 s60, s81                                      // 0000000037F0: BF0A513C
	s_cselect_b32 s57, s57, 0                                  // 0000000037F4: 85398039
	v_mfma_i32_16x16x32_i8 v[100:103], a[50:51], a[26:27], v[100:103]// 0000000037F8: D3D70064 1D923532
	buffer_load_dwordx4 a[120:123], v45, s[84:87], 0 offen     // 000000003800: E05C1000 8095782D
	s_add_u32 s60, 0x100, s80                                  // 000000003808: 803C50FF 00000100
	s_cmp_lt_u32 s60, s81                                      // 000000003810: BF0A513C
	s_cselect_b32 s58, s58, 0                                  // 000000003814: 853A803A
	v_mfma_i32_16x16x32_i8 v[100:103], a[52:53], a[28:29], v[100:103]// 000000003818: D3D70064 1D923934
	s_add_u32 s60, 0x100, s80                                  // 000000003820: 803C50FF 00000100
	s_cmp_lt_u32 s60, s81                                      // 000000003828: BF0A513C
	s_cselect_b32 s83, s83, 0                                  // 00000000382C: 85538053
	v_mfma_i32_16x16x32_i8 v[100:103], a[54:55], a[30:31], v[100:103]// 000000003830: D3D70064 1D923D36
	s_add_u32 s24, s58, s24                                    // 000000003838: 8018183A
	s_addc_u32 s25, 0, s25                                     // 00000000383C: 82191980
	v_mfma_i32_16x16x32_i8 v[108:111], a[56:57], a[24:25], v[108:111]// 000000003840: D3D7006C 1DB23138
	s_add_u32 s20, s57, s20                                    // 000000003848: 80141439
	s_addc_u32 s21, 0, s21                                     // 00000000384C: 82151580
	v_mfma_i32_16x16x32_i8 v[108:111], a[58:59], a[26:27], v[108:111]// 000000003850: D3D7006C 1DB2353A
	buffer_load_dwordx4 a[124:127], v45, s[84:87], 0 offen offset:1024// 000000003858: E05C1400 80957C2D
	s_add_u32 s84, s83, s84                                    // 000000003860: 80545453
	s_addc_u32 s85, 0, s85                                     // 000000003864: 82555580
	v_mfma_i32_16x16x32_i8 v[108:111], a[60:61], a[28:29], v[108:111]// 000000003868: D3D7006C 1DB2393C
	v_mfma_i32_16x16x32_i8 v[108:111], a[62:63], a[30:31], v[108:111]// 000000003870: D3D7006C 1DB23D3E
	s_addk_i32 s80, 0x80                                       // 000000003878: B7500080
	s_cmp_lt_i32 s80, s81                                      // 00000000387C: BF045150
	s_cbranch_scc0 label_06DE                                  // 000000003880: BF84033D
	s_waitcnt vmcnt(12) lgkmcnt(0)                             // 000000003884: BF8C007C
	v_mfma_i32_16x16x32_i8 v[48:51], a[64:65], a[0:1], v[48:51]// 000000003888: D3D70030 1CC20140
	v_mfma_i32_16x16x32_i8 v[48:51], a[66:67], a[2:3], v[48:51]// 000000003890: D3D70030 1CC20542
	buffer_load_dwordx4 a[32:35], v42, s[24:27], 0 offen       // 000000003898: E05C1000 8086202A
	v_mfma_i32_16x16x32_i8 v[48:51], a[68:69], a[4:5], v[48:51]// 0000000038A0: D3D70030 1CC20944
	v_mfma_i32_16x16x32_i8 v[48:51], a[70:71], a[6:7], v[48:51]// 0000000038A8: D3D70030 1CC20D46
	v_mfma_i32_16x16x32_i8 v[56:59], a[72:73], a[0:1], v[56:59]// 0000000038B0: D3D70038 1CE20148
	v_mfma_i32_16x16x32_i8 v[56:59], a[74:75], a[2:3], v[56:59]// 0000000038B8: D3D70038 1CE2054A
	buffer_load_dwordx4 a[36:39], v42, s[24:27], 0 offen offset:1024// 0000000038C0: E05C1400 8086242A
	v_mfma_i32_16x16x32_i8 v[56:59], a[76:77], a[4:5], v[56:59]// 0000000038C8: D3D70038 1CE2094C
	v_mfma_i32_16x16x32_i8 v[56:59], a[78:79], a[6:7], v[56:59]// 0000000038D0: D3D70038 1CE20D4E
	v_mfma_i32_16x16x32_i8 v[64:67], a[80:81], a[0:1], v[64:67]// 0000000038D8: D3D70040 1D020150
	v_mfma_i32_16x16x32_i8 v[64:67], a[82:83], a[2:3], v[64:67]// 0000000038E0: D3D70040 1D020552
	buffer_load_dwordx4 a[40:43], v43, s[24:27], 0 offen       // 0000000038E8: E05C1000 8086282B
	v_mfma_i32_16x16x32_i8 v[64:67], a[84:85], a[4:5], v[64:67]// 0000000038F0: D3D70040 1D020954
	v_mfma_i32_16x16x32_i8 v[64:67], a[86:87], a[6:7], v[64:67]// 0000000038F8: D3D70040 1D020D56
	v_mfma_i32_16x16x32_i8 v[72:75], a[88:89], a[0:1], v[72:75]// 000000003900: D3D70048 1D220158
	v_mfma_i32_16x16x32_i8 v[72:75], a[90:91], a[2:3], v[72:75]// 000000003908: D3D70048 1D22055A
	buffer_load_dwordx4 a[44:47], v43, s[24:27], 0 offen offset:1024// 000000003910: E05C1400 80862C2B
	v_mfma_i32_16x16x32_i8 v[72:75], a[92:93], a[4:5], v[72:75]// 000000003918: D3D70048 1D22095C
	v_mfma_i32_16x16x32_i8 v[72:75], a[94:95], a[6:7], v[72:75]// 000000003920: D3D70048 1D220D5E
	v_mfma_i32_16x16x32_i8 v[52:55], a[64:65], a[8:9], v[52:55]// 000000003928: D3D70034 1CD21140
	v_mfma_i32_16x16x32_i8 v[52:55], a[66:67], a[10:11], v[52:55]// 000000003930: D3D70034 1CD21542
	buffer_load_dwordx4 a[48:51], v44, s[24:27], 0 offen       // 000000003938: E05C1000 8086302C
	v_mfma_i32_16x16x32_i8 v[52:55], a[68:69], a[12:13], v[52:55]// 000000003940: D3D70034 1CD21944
	v_mfma_i32_16x16x32_i8 v[52:55], a[70:71], a[14:15], v[52:55]// 000000003948: D3D70034 1CD21D46
	v_mfma_i32_16x16x32_i8 v[60:63], a[72:73], a[8:9], v[60:63]// 000000003950: D3D7003C 1CF21148
	v_mfma_i32_16x16x32_i8 v[60:63], a[74:75], a[10:11], v[60:63]// 000000003958: D3D7003C 1CF2154A
	buffer_load_dwordx4 a[52:55], v44, s[24:27], 0 offen offset:1024// 000000003960: E05C1400 8086342C
	v_mfma_i32_16x16x32_i8 v[60:63], a[76:77], a[12:13], v[60:63]// 000000003968: D3D7003C 1CF2194C
	v_mfma_i32_16x16x32_i8 v[60:63], a[78:79], a[14:15], v[60:63]// 000000003970: D3D7003C 1CF21D4E
	v_mfma_i32_16x16x32_i8 v[68:71], a[80:81], a[8:9], v[68:71]// 000000003978: D3D70044 1D121150
	v_mfma_i32_16x16x32_i8 v[68:71], a[82:83], a[10:11], v[68:71]// 000000003980: D3D70044 1D121552
	buffer_load_dwordx4 a[56:59], v45, s[24:27], 0 offen       // 000000003988: E05C1000 8086382D
	v_mfma_i32_16x16x32_i8 v[68:71], a[84:85], a[12:13], v[68:71]// 000000003990: D3D70044 1D121954
	v_mfma_i32_16x16x32_i8 v[68:71], a[86:87], a[14:15], v[68:71]// 000000003998: D3D70044 1D121D56
	v_mfma_i32_16x16x32_i8 v[76:79], a[88:89], a[8:9], v[76:79]// 0000000039A0: D3D7004C 1D321158
	v_mfma_i32_16x16x32_i8 v[76:79], a[90:91], a[10:11], v[76:79]// 0000000039A8: D3D7004C 1D32155A
	buffer_load_dwordx4 a[60:63], v45, s[24:27], 0 offen offset:1024// 0000000039B0: E05C1400 80863C2D
	buffer_load_dword v38, s[20:23], 0 offen lds               // 0000000039B8: E0511000 80050026
	s_add_u32 m0, 0x100, s49                                   // 0000000039C0: 807C31FF 00000100
	v_mfma_i32_16x16x32_i8 v[76:79], a[92:93], a[12:13], v[76:79]// 0000000039C8: D3D7004C 1D32195C
	v_mfma_i32_16x16x32_i8 v[76:79], a[94:95], a[14:15], v[76:79]// 0000000039D0: D3D7004C 1D321D5E
	buffer_load_dword v39, s[20:23], 0 offen lds               // 0000000039D8: E0511000 80050027
	s_add_u32 m0, 0x200, s49                                   // 0000000039E0: 807C31FF 00000200
	buffer_load_dword v40, s[20:23], 0 offen lds               // 0000000039E8: E0511000 80050028
	s_add_u32 m0, 0x300, s49                                   // 0000000039F0: 807C31FF 00000300
	buffer_load_dword v41, s[20:23], 0 offen lds               // 0000000039F8: E0511000 80050029
	s_add_u32 m0, 0, s50                                       // 000000003A00: 807C3280
	s_waitcnt vmcnt(12)                                        // 000000003A04: BF8C0F7C
	s_barrier                                                  // 000000003A08: BF8A0000
	v_mfma_i32_16x16x32_i8 v[80:83], a[96:97], a[0:1], v[80:83]// 000000003A0C: D3D70050 1D420160
	v_mfma_i32_16x16x32_i8 v[80:83], a[98:99], a[2:3], v[80:83]// 000000003A14: D3D70050 1D420562
	buffer_load_dwordx4 a[64:67], v42, s[84:87], 0 offen       // 000000003A1C: E05C1000 8095402A
	v_mfma_i32_16x16x32_i8 v[80:83], a[100:101], a[4:5], v[80:83]// 000000003A24: D3D70050 1D420964
	v_mfma_i32_16x16x32_i8 v[80:83], a[102:103], a[6:7], v[80:83]// 000000003A2C: D3D70050 1D420D66
	ds_read_b128 a[16:19], v2                                  // 000000003A34: DBFE0000 10000002
	ds_read_b128 a[20:23], v2 offset:64                        // 000000003A3C: DBFE0040 14000002
	v_mfma_i32_16x16x32_i8 v[88:91], a[104:105], a[0:1], v[88:91]// 000000003A44: D3D70058 1D620168
	v_mfma_i32_16x16x32_i8 v[88:91], a[106:107], a[2:3], v[88:91]// 000000003A4C: D3D70058 1D62056A
	buffer_load_dwordx4 a[68:71], v42, s[84:87], 0 offen offset:1024// 000000003A54: E05C1400 8095442A
	v_mfma_i32_16x16x32_i8 v[88:91], a[108:109], a[4:5], v[88:91]// 000000003A5C: D3D70058 1D62096C
	v_mfma_i32_16x16x32_i8 v[88:91], a[110:111], a[6:7], v[88:91]// 000000003A64: D3D70058 1D620D6E
	ds_read_b128 a[24:27], v2 offset:512                       // 000000003A6C: DBFE0200 18000002
	ds_read_b128 a[28:31], v2 offset:576                       // 000000003A74: DBFE0240 1C000002
	v_mfma_i32_16x16x32_i8 v[96:99], a[112:113], a[0:1], v[96:99]// 000000003A7C: D3D70060 1D820170
	v_mfma_i32_16x16x32_i8 v[96:99], a[114:115], a[2:3], v[96:99]// 000000003A84: D3D70060 1D820572
	buffer_load_dwordx4 a[72:75], v43, s[84:87], 0 offen       // 000000003A8C: E05C1000 8095482B
	v_mfma_i32_16x16x32_i8 v[96:99], a[116:117], a[4:5], v[96:99]// 000000003A94: D3D70060 1D820974
	v_mfma_i32_16x16x32_i8 v[96:99], a[118:119], a[6:7], v[96:99]// 000000003A9C: D3D70060 1D820D76
	v_mfma_i32_16x16x32_i8 v[104:107], a[120:121], a[0:1], v[104:107]// 000000003AA4: D3D70068 1DA20178
	v_mfma_i32_16x16x32_i8 v[104:107], a[122:123], a[2:3], v[104:107]// 000000003AAC: D3D70068 1DA2057A
	buffer_load_dwordx4 a[76:79], v43, s[84:87], 0 offen offset:1024// 000000003AB4: E05C1400 80954C2B
	v_mfma_i32_16x16x32_i8 v[104:107], a[124:125], a[4:5], v[104:107]// 000000003ABC: D3D70068 1DA2097C
	v_mfma_i32_16x16x32_i8 v[104:107], a[126:127], a[6:7], v[104:107]// 000000003AC4: D3D70068 1DA20D7E
	v_mfma_i32_16x16x32_i8 v[84:87], a[96:97], a[8:9], v[84:87]// 000000003ACC: D3D70054 1D521160
	v_mfma_i32_16x16x32_i8 v[84:87], a[98:99], a[10:11], v[84:87]// 000000003AD4: D3D70054 1D521562
	buffer_load_dwordx4 a[80:83], v44, s[84:87], 0 offen       // 000000003ADC: E05C1000 8095502C
	v_mfma_i32_16x16x32_i8 v[84:87], a[100:101], a[12:13], v[84:87]// 000000003AE4: D3D70054 1D521964
	v_mfma_i32_16x16x32_i8 v[84:87], a[102:103], a[14:15], v[84:87]// 000000003AEC: D3D70054 1D521D66
	v_mfma_i32_16x16x32_i8 v[92:95], a[104:105], a[8:9], v[92:95]// 000000003AF4: D3D7005C 1D721168
	v_mfma_i32_16x16x32_i8 v[92:95], a[106:107], a[10:11], v[92:95]// 000000003AFC: D3D7005C 1D72156A
	buffer_load_dwordx4 a[84:87], v44, s[84:87], 0 offen offset:1024// 000000003B04: E05C1400 8095542C
	v_mfma_i32_16x16x32_i8 v[92:95], a[108:109], a[12:13], v[92:95]// 000000003B0C: D3D7005C 1D72196C
	v_mfma_i32_16x16x32_i8 v[92:95], a[110:111], a[14:15], v[92:95]// 000000003B14: D3D7005C 1D721D6E
	v_mfma_i32_16x16x32_i8 v[100:103], a[112:113], a[8:9], v[100:103]// 000000003B1C: D3D70064 1D921170
	s_add_u32 s60, 0x180, s80                                  // 000000003B24: 803C50FF 00000180
	s_cmp_lt_u32 s60, s81                                      // 000000003B2C: BF0A513C
	s_cselect_b32 s57, s57, 0                                  // 000000003B30: 85398039
	v_mfma_i32_16x16x32_i8 v[100:103], a[114:115], a[10:11], v[100:103]// 000000003B34: D3D70064 1D921572
	buffer_load_dwordx4 a[88:91], v45, s[84:87], 0 offen       // 000000003B3C: E05C1000 8095582D
	s_add_u32 s60, 0x100, s80                                  // 000000003B44: 803C50FF 00000100
	s_cmp_lt_u32 s60, s81                                      // 000000003B4C: BF0A513C
	s_cselect_b32 s58, s58, 0                                  // 000000003B50: 853A803A
	v_mfma_i32_16x16x32_i8 v[100:103], a[116:117], a[12:13], v[100:103]// 000000003B54: D3D70064 1D921974
	s_add_u32 s60, 0x100, s80                                  // 000000003B5C: 803C50FF 00000100
	s_cmp_lt_u32 s60, s81                                      // 000000003B64: BF0A513C
	s_cselect_b32 s83, s83, 0                                  // 000000003B68: 85538053
	v_mfma_i32_16x16x32_i8 v[100:103], a[118:119], a[14:15], v[100:103]// 000000003B6C: D3D70064 1D921D76
	s_add_u32 s24, s58, s24                                    // 000000003B74: 8018183A
	s_addc_u32 s25, 0, s25                                     // 000000003B78: 82191980
	v_mfma_i32_16x16x32_i8 v[108:111], a[120:121], a[8:9], v[108:111]// 000000003B7C: D3D7006C 1DB21178
	s_add_u32 s20, s57, s20                                    // 000000003B84: 80141439
	s_addc_u32 s21, 0, s21                                     // 000000003B88: 82151580
	v_mfma_i32_16x16x32_i8 v[108:111], a[122:123], a[10:11], v[108:111]// 000000003B8C: D3D7006C 1DB2157A
	buffer_load_dwordx4 a[92:95], v45, s[84:87], 0 offen offset:1024// 000000003B94: E05C1400 80955C2D
	s_add_u32 s84, s83, s84                                    // 000000003B9C: 80545453
	s_addc_u32 s85, 0, s85                                     // 000000003BA0: 82555580
	v_mfma_i32_16x16x32_i8 v[108:111], a[124:125], a[12:13], v[108:111]// 000000003BA4: D3D7006C 1DB2197C
	v_mfma_i32_16x16x32_i8 v[108:111], a[126:127], a[14:15], v[108:111]// 000000003BAC: D3D7006C 1DB21D7E
	s_addk_i32 s80, 0x80                                       // 000000003BB4: B7500080
	s_cmp_lt_i32 s80, s81                                      // 000000003BB8: BF045150
	s_cbranch_scc0 label_06DE                                  // 000000003BBC: BF84026E
	s_waitcnt vmcnt(12) lgkmcnt(0)                             // 000000003BC0: BF8C007C
	v_mfma_i32_16x16x32_i8 v[48:51], a[32:33], a[16:17], v[48:51]// 000000003BC4: D3D70030 1CC22120
	v_mfma_i32_16x16x32_i8 v[48:51], a[34:35], a[18:19], v[48:51]// 000000003BCC: D3D70030 1CC22522
	buffer_load_dwordx4 a[96:99], v42, s[24:27], 0 offen       // 000000003BD4: E05C1000 8086602A
	v_mfma_i32_16x16x32_i8 v[48:51], a[36:37], a[20:21], v[48:51]// 000000003BDC: D3D70030 1CC22924
	v_mfma_i32_16x16x32_i8 v[48:51], a[38:39], a[22:23], v[48:51]// 000000003BE4: D3D70030 1CC22D26
	v_mfma_i32_16x16x32_i8 v[56:59], a[40:41], a[16:17], v[56:59]// 000000003BEC: D3D70038 1CE22128
	v_mfma_i32_16x16x32_i8 v[56:59], a[42:43], a[18:19], v[56:59]// 000000003BF4: D3D70038 1CE2252A
	buffer_load_dwordx4 a[100:103], v42, s[24:27], 0 offen offset:1024// 000000003BFC: E05C1400 8086642A
	v_mfma_i32_16x16x32_i8 v[56:59], a[44:45], a[20:21], v[56:59]// 000000003C04: D3D70038 1CE2292C
	v_mfma_i32_16x16x32_i8 v[56:59], a[46:47], a[22:23], v[56:59]// 000000003C0C: D3D70038 1CE22D2E
	v_mfma_i32_16x16x32_i8 v[64:67], a[48:49], a[16:17], v[64:67]// 000000003C14: D3D70040 1D022130
	v_mfma_i32_16x16x32_i8 v[64:67], a[50:51], a[18:19], v[64:67]// 000000003C1C: D3D70040 1D022532
	buffer_load_dwordx4 a[104:107], v43, s[24:27], 0 offen     // 000000003C24: E05C1000 8086682B
	v_mfma_i32_16x16x32_i8 v[64:67], a[52:53], a[20:21], v[64:67]// 000000003C2C: D3D70040 1D022934
	v_mfma_i32_16x16x32_i8 v[64:67], a[54:55], a[22:23], v[64:67]// 000000003C34: D3D70040 1D022D36
	v_mfma_i32_16x16x32_i8 v[72:75], a[56:57], a[16:17], v[72:75]// 000000003C3C: D3D70048 1D222138
	v_mfma_i32_16x16x32_i8 v[72:75], a[58:59], a[18:19], v[72:75]// 000000003C44: D3D70048 1D22253A
	buffer_load_dwordx4 a[108:111], v43, s[24:27], 0 offen offset:1024// 000000003C4C: E05C1400 80866C2B
	v_mfma_i32_16x16x32_i8 v[72:75], a[60:61], a[20:21], v[72:75]// 000000003C54: D3D70048 1D22293C
	v_mfma_i32_16x16x32_i8 v[72:75], a[62:63], a[22:23], v[72:75]// 000000003C5C: D3D70048 1D222D3E
	v_mfma_i32_16x16x32_i8 v[52:55], a[32:33], a[24:25], v[52:55]// 000000003C64: D3D70034 1CD23120
	v_mfma_i32_16x16x32_i8 v[52:55], a[34:35], a[26:27], v[52:55]// 000000003C6C: D3D70034 1CD23522
	buffer_load_dwordx4 a[112:115], v44, s[24:27], 0 offen     // 000000003C74: E05C1000 8086702C
	v_mfma_i32_16x16x32_i8 v[52:55], a[36:37], a[28:29], v[52:55]// 000000003C7C: D3D70034 1CD23924
	v_mfma_i32_16x16x32_i8 v[52:55], a[38:39], a[30:31], v[52:55]// 000000003C84: D3D70034 1CD23D26
	v_mfma_i32_16x16x32_i8 v[60:63], a[40:41], a[24:25], v[60:63]// 000000003C8C: D3D7003C 1CF23128
	v_mfma_i32_16x16x32_i8 v[60:63], a[42:43], a[26:27], v[60:63]// 000000003C94: D3D7003C 1CF2352A
	buffer_load_dwordx4 a[116:119], v44, s[24:27], 0 offen offset:1024// 000000003C9C: E05C1400 8086742C
	v_mfma_i32_16x16x32_i8 v[60:63], a[44:45], a[28:29], v[60:63]// 000000003CA4: D3D7003C 1CF2392C
	v_mfma_i32_16x16x32_i8 v[60:63], a[46:47], a[30:31], v[60:63]// 000000003CAC: D3D7003C 1CF23D2E
	v_mfma_i32_16x16x32_i8 v[68:71], a[48:49], a[24:25], v[68:71]// 000000003CB4: D3D70044 1D123130
	v_mfma_i32_16x16x32_i8 v[68:71], a[50:51], a[26:27], v[68:71]// 000000003CBC: D3D70044 1D123532
	buffer_load_dwordx4 a[120:123], v45, s[24:27], 0 offen     // 000000003CC4: E05C1000 8086782D
	v_mfma_i32_16x16x32_i8 v[68:71], a[52:53], a[28:29], v[68:71]// 000000003CCC: D3D70044 1D123934
	v_mfma_i32_16x16x32_i8 v[68:71], a[54:55], a[30:31], v[68:71]// 000000003CD4: D3D70044 1D123D36
	v_mfma_i32_16x16x32_i8 v[76:79], a[56:57], a[24:25], v[76:79]// 000000003CDC: D3D7004C 1D323138
	v_mfma_i32_16x16x32_i8 v[76:79], a[58:59], a[26:27], v[76:79]// 000000003CE4: D3D7004C 1D32353A
	buffer_load_dwordx4 a[124:127], v45, s[24:27], 0 offen offset:1024// 000000003CEC: E05C1400 80867C2D
	buffer_load_dword v38, s[20:23], 0 offen lds               // 000000003CF4: E0511000 80050026
	s_add_u32 m0, 0x100, s50                                   // 000000003CFC: 807C32FF 00000100
	v_mfma_i32_16x16x32_i8 v[76:79], a[60:61], a[28:29], v[76:79]// 000000003D04: D3D7004C 1D32393C
	v_mfma_i32_16x16x32_i8 v[76:79], a[62:63], a[30:31], v[76:79]// 000000003D0C: D3D7004C 1D323D3E
	buffer_load_dword v39, s[20:23], 0 offen lds               // 000000003D14: E0511000 80050027
	s_add_u32 m0, 0x200, s50                                   // 000000003D1C: 807C32FF 00000200
	buffer_load_dword v40, s[20:23], 0 offen lds               // 000000003D24: E0511000 80050028
	s_add_u32 m0, 0x300, s50                                   // 000000003D2C: 807C32FF 00000300
	buffer_load_dword v41, s[20:23], 0 offen lds               // 000000003D34: E0511000 80050029
	s_add_u32 m0, 0, s48                                       // 000000003D3C: 807C3080
	s_waitcnt vmcnt(12)                                        // 000000003D40: BF8C0F7C
	s_barrier                                                  // 000000003D44: BF8A0000
	v_mfma_i32_16x16x32_i8 v[80:83], a[64:65], a[16:17], v[80:83]// 000000003D48: D3D70050 1D422140
	v_mfma_i32_16x16x32_i8 v[80:83], a[66:67], a[18:19], v[80:83]// 000000003D50: D3D70050 1D422542
	buffer_load_dwordx4 a[32:35], v42, s[84:87], 0 offen       // 000000003D58: E05C1000 8095202A
	v_mfma_i32_16x16x32_i8 v[80:83], a[68:69], a[20:21], v[80:83]// 000000003D60: D3D70050 1D422944
	v_mfma_i32_16x16x32_i8 v[80:83], a[70:71], a[22:23], v[80:83]// 000000003D68: D3D70050 1D422D46
	ds_read_b128 a[0:3], v2 offset:4224                        // 000000003D70: DBFE1080 00000002
	ds_read_b128 a[4:7], v2 offset:4288                        // 000000003D78: DBFE10C0 04000002
	v_mfma_i32_16x16x32_i8 v[88:91], a[72:73], a[16:17], v[88:91]// 000000003D80: D3D70058 1D622148
	v_mfma_i32_16x16x32_i8 v[88:91], a[74:75], a[18:19], v[88:91]// 000000003D88: D3D70058 1D62254A
	buffer_load_dwordx4 a[36:39], v42, s[84:87], 0 offen offset:1024// 000000003D90: E05C1400 8095242A
	v_mfma_i32_16x16x32_i8 v[88:91], a[76:77], a[20:21], v[88:91]// 000000003D98: D3D70058 1D62294C
	v_mfma_i32_16x16x32_i8 v[88:91], a[78:79], a[22:23], v[88:91]// 000000003DA0: D3D70058 1D622D4E
	ds_read_b128 a[8:11], v2 offset:4736                       // 000000003DA8: DBFE1280 08000002
	ds_read_b128 a[12:15], v2 offset:4800                      // 000000003DB0: DBFE12C0 0C000002
	v_mfma_i32_16x16x32_i8 v[96:99], a[80:81], a[16:17], v[96:99]// 000000003DB8: D3D70060 1D822150
	v_mfma_i32_16x16x32_i8 v[96:99], a[82:83], a[18:19], v[96:99]// 000000003DC0: D3D70060 1D822552
	buffer_load_dwordx4 a[40:43], v43, s[84:87], 0 offen       // 000000003DC8: E05C1000 8095282B
	v_mfma_i32_16x16x32_i8 v[96:99], a[84:85], a[20:21], v[96:99]// 000000003DD0: D3D70060 1D822954
	v_mfma_i32_16x16x32_i8 v[96:99], a[86:87], a[22:23], v[96:99]// 000000003DD8: D3D70060 1D822D56
	v_mfma_i32_16x16x32_i8 v[104:107], a[88:89], a[16:17], v[104:107]// 000000003DE0: D3D70068 1DA22158
	v_mfma_i32_16x16x32_i8 v[104:107], a[90:91], a[18:19], v[104:107]// 000000003DE8: D3D70068 1DA2255A
	buffer_load_dwordx4 a[44:47], v43, s[84:87], 0 offen offset:1024// 000000003DF0: E05C1400 80952C2B
	v_mfma_i32_16x16x32_i8 v[104:107], a[92:93], a[20:21], v[104:107]// 000000003DF8: D3D70068 1DA2295C
	v_mfma_i32_16x16x32_i8 v[104:107], a[94:95], a[22:23], v[104:107]// 000000003E00: D3D70068 1DA22D5E
	v_mfma_i32_16x16x32_i8 v[84:87], a[64:65], a[24:25], v[84:87]// 000000003E08: D3D70054 1D523140
	v_mfma_i32_16x16x32_i8 v[84:87], a[66:67], a[26:27], v[84:87]// 000000003E10: D3D70054 1D523542
	buffer_load_dwordx4 a[48:51], v44, s[84:87], 0 offen       // 000000003E18: E05C1000 8095302C
	v_mfma_i32_16x16x32_i8 v[84:87], a[68:69], a[28:29], v[84:87]// 000000003E20: D3D70054 1D523944
	v_mfma_i32_16x16x32_i8 v[84:87], a[70:71], a[30:31], v[84:87]// 000000003E28: D3D70054 1D523D46
	v_mfma_i32_16x16x32_i8 v[92:95], a[72:73], a[24:25], v[92:95]// 000000003E30: D3D7005C 1D723148
	v_mfma_i32_16x16x32_i8 v[92:95], a[74:75], a[26:27], v[92:95]// 000000003E38: D3D7005C 1D72354A
	buffer_load_dwordx4 a[52:55], v44, s[84:87], 0 offen offset:1024// 000000003E40: E05C1400 8095342C
	v_mfma_i32_16x16x32_i8 v[92:95], a[76:77], a[28:29], v[92:95]// 000000003E48: D3D7005C 1D72394C
	v_mfma_i32_16x16x32_i8 v[92:95], a[78:79], a[30:31], v[92:95]// 000000003E50: D3D7005C 1D723D4E
	v_mfma_i32_16x16x32_i8 v[100:103], a[80:81], a[24:25], v[100:103]// 000000003E58: D3D70064 1D923150
	s_add_u32 s60, 0x180, s80                                  // 000000003E60: 803C50FF 00000180
	s_cmp_lt_u32 s60, s81                                      // 000000003E68: BF0A513C
	s_cselect_b32 s57, s57, 0                                  // 000000003E6C: 85398039
	v_mfma_i32_16x16x32_i8 v[100:103], a[82:83], a[26:27], v[100:103]// 000000003E70: D3D70064 1D923552
	buffer_load_dwordx4 a[56:59], v45, s[84:87], 0 offen       // 000000003E78: E05C1000 8095382D
	s_add_u32 s60, 0x100, s80                                  // 000000003E80: 803C50FF 00000100
	s_cmp_lt_u32 s60, s81                                      // 000000003E88: BF0A513C
	s_cselect_b32 s58, s58, 0                                  // 000000003E8C: 853A803A
	v_mfma_i32_16x16x32_i8 v[100:103], a[84:85], a[28:29], v[100:103]// 000000003E90: D3D70064 1D923954
	s_add_u32 s60, 0x100, s80                                  // 000000003E98: 803C50FF 00000100
	s_cmp_lt_u32 s60, s81                                      // 000000003EA0: BF0A513C
	s_cselect_b32 s83, s83, 0                                  // 000000003EA4: 85538053
	v_mfma_i32_16x16x32_i8 v[100:103], a[86:87], a[30:31], v[100:103]// 000000003EA8: D3D70064 1D923D56
	s_add_u32 s24, s58, s24                                    // 000000003EB0: 8018183A
	s_addc_u32 s25, 0, s25                                     // 000000003EB4: 82191980
	v_mfma_i32_16x16x32_i8 v[108:111], a[88:89], a[24:25], v[108:111]// 000000003EB8: D3D7006C 1DB23158
	s_add_u32 s20, s57, s20                                    // 000000003EC0: 80141439
	s_addc_u32 s21, 0, s21                                     // 000000003EC4: 82151580
	v_mfma_i32_16x16x32_i8 v[108:111], a[90:91], a[26:27], v[108:111]// 000000003EC8: D3D7006C 1DB2355A
	buffer_load_dwordx4 a[60:63], v45, s[84:87], 0 offen offset:1024// 000000003ED0: E05C1400 80953C2D
	s_add_u32 s84, s83, s84                                    // 000000003ED8: 80545453
	s_addc_u32 s85, 0, s85                                     // 000000003EDC: 82555580
	v_mfma_i32_16x16x32_i8 v[108:111], a[92:93], a[28:29], v[108:111]// 000000003EE0: D3D7006C 1DB2395C
	v_mfma_i32_16x16x32_i8 v[108:111], a[94:95], a[30:31], v[108:111]// 000000003EE8: D3D7006C 1DB23D5E
	s_addk_i32 s80, 0x80                                       // 000000003EF0: B7500080
	s_cmp_lt_i32 s80, s81                                      // 000000003EF4: BF045150
	s_cbranch_scc0 label_06DE                                  // 000000003EF8: BF84019F
	s_waitcnt vmcnt(12) lgkmcnt(0)                             // 000000003EFC: BF8C007C
	v_mfma_i32_16x16x32_i8 v[48:51], a[96:97], a[0:1], v[48:51]// 000000003F00: D3D70030 1CC20160
	v_mfma_i32_16x16x32_i8 v[48:51], a[98:99], a[2:3], v[48:51]// 000000003F08: D3D70030 1CC20562
	buffer_load_dwordx4 a[64:67], v42, s[24:27], 0 offen       // 000000003F10: E05C1000 8086402A
	v_mfma_i32_16x16x32_i8 v[48:51], a[100:101], a[4:5], v[48:51]// 000000003F18: D3D70030 1CC20964
	v_mfma_i32_16x16x32_i8 v[48:51], a[102:103], a[6:7], v[48:51]// 000000003F20: D3D70030 1CC20D66
	v_mfma_i32_16x16x32_i8 v[56:59], a[104:105], a[0:1], v[56:59]// 000000003F28: D3D70038 1CE20168
	v_mfma_i32_16x16x32_i8 v[56:59], a[106:107], a[2:3], v[56:59]// 000000003F30: D3D70038 1CE2056A
	buffer_load_dwordx4 a[68:71], v42, s[24:27], 0 offen offset:1024// 000000003F38: E05C1400 8086442A
	v_mfma_i32_16x16x32_i8 v[56:59], a[108:109], a[4:5], v[56:59]// 000000003F40: D3D70038 1CE2096C
	v_mfma_i32_16x16x32_i8 v[56:59], a[110:111], a[6:7], v[56:59]// 000000003F48: D3D70038 1CE20D6E
	v_mfma_i32_16x16x32_i8 v[64:67], a[112:113], a[0:1], v[64:67]// 000000003F50: D3D70040 1D020170
	v_mfma_i32_16x16x32_i8 v[64:67], a[114:115], a[2:3], v[64:67]// 000000003F58: D3D70040 1D020572
	buffer_load_dwordx4 a[72:75], v43, s[24:27], 0 offen       // 000000003F60: E05C1000 8086482B
	v_mfma_i32_16x16x32_i8 v[64:67], a[116:117], a[4:5], v[64:67]// 000000003F68: D3D70040 1D020974
	v_mfma_i32_16x16x32_i8 v[64:67], a[118:119], a[6:7], v[64:67]// 000000003F70: D3D70040 1D020D76
	v_mfma_i32_16x16x32_i8 v[72:75], a[120:121], a[0:1], v[72:75]// 000000003F78: D3D70048 1D220178
	v_mfma_i32_16x16x32_i8 v[72:75], a[122:123], a[2:3], v[72:75]// 000000003F80: D3D70048 1D22057A
	buffer_load_dwordx4 a[76:79], v43, s[24:27], 0 offen offset:1024// 000000003F88: E05C1400 80864C2B
	v_mfma_i32_16x16x32_i8 v[72:75], a[124:125], a[4:5], v[72:75]// 000000003F90: D3D70048 1D22097C
	v_mfma_i32_16x16x32_i8 v[72:75], a[126:127], a[6:7], v[72:75]// 000000003F98: D3D70048 1D220D7E
	v_mfma_i32_16x16x32_i8 v[52:55], a[96:97], a[8:9], v[52:55]// 000000003FA0: D3D70034 1CD21160
	v_mfma_i32_16x16x32_i8 v[52:55], a[98:99], a[10:11], v[52:55]// 000000003FA8: D3D70034 1CD21562
	buffer_load_dwordx4 a[80:83], v44, s[24:27], 0 offen       // 000000003FB0: E05C1000 8086502C
	v_mfma_i32_16x16x32_i8 v[52:55], a[100:101], a[12:13], v[52:55]// 000000003FB8: D3D70034 1CD21964
	v_mfma_i32_16x16x32_i8 v[52:55], a[102:103], a[14:15], v[52:55]// 000000003FC0: D3D70034 1CD21D66
	v_mfma_i32_16x16x32_i8 v[60:63], a[104:105], a[8:9], v[60:63]// 000000003FC8: D3D7003C 1CF21168
	v_mfma_i32_16x16x32_i8 v[60:63], a[106:107], a[10:11], v[60:63]// 000000003FD0: D3D7003C 1CF2156A
	buffer_load_dwordx4 a[84:87], v44, s[24:27], 0 offen offset:1024// 000000003FD8: E05C1400 8086542C
	v_mfma_i32_16x16x32_i8 v[60:63], a[108:109], a[12:13], v[60:63]// 000000003FE0: D3D7003C 1CF2196C
	v_mfma_i32_16x16x32_i8 v[60:63], a[110:111], a[14:15], v[60:63]// 000000003FE8: D3D7003C 1CF21D6E
	v_mfma_i32_16x16x32_i8 v[68:71], a[112:113], a[8:9], v[68:71]// 000000003FF0: D3D70044 1D121170
	v_mfma_i32_16x16x32_i8 v[68:71], a[114:115], a[10:11], v[68:71]// 000000003FF8: D3D70044 1D121572
	buffer_load_dwordx4 a[88:91], v45, s[24:27], 0 offen       // 000000004000: E05C1000 8086582D
	v_mfma_i32_16x16x32_i8 v[68:71], a[116:117], a[12:13], v[68:71]// 000000004008: D3D70044 1D121974
	v_mfma_i32_16x16x32_i8 v[68:71], a[118:119], a[14:15], v[68:71]// 000000004010: D3D70044 1D121D76
	v_mfma_i32_16x16x32_i8 v[76:79], a[120:121], a[8:9], v[76:79]// 000000004018: D3D7004C 1D321178
	v_mfma_i32_16x16x32_i8 v[76:79], a[122:123], a[10:11], v[76:79]// 000000004020: D3D7004C 1D32157A
	buffer_load_dwordx4 a[92:95], v45, s[24:27], 0 offen offset:1024// 000000004028: E05C1400 80865C2D
	buffer_load_dword v38, s[20:23], 0 offen lds               // 000000004030: E0511000 80050026
	s_add_u32 m0, 0x100, s48                                   // 000000004038: 807C30FF 00000100
	v_mfma_i32_16x16x32_i8 v[76:79], a[124:125], a[12:13], v[76:79]// 000000004040: D3D7004C 1D32197C
	v_mfma_i32_16x16x32_i8 v[76:79], a[126:127], a[14:15], v[76:79]// 000000004048: D3D7004C 1D321D7E
	buffer_load_dword v39, s[20:23], 0 offen lds               // 000000004050: E0511000 80050027
	s_add_u32 m0, 0x200, s48                                   // 000000004058: 807C30FF 00000200
	buffer_load_dword v40, s[20:23], 0 offen lds               // 000000004060: E0511000 80050028
	s_add_u32 m0, 0x300, s48                                   // 000000004068: 807C30FF 00000300
	buffer_load_dword v41, s[20:23], 0 offen lds               // 000000004070: E0511000 80050029
	s_add_u32 m0, 0, s49                                       // 000000004078: 807C3180
	s_waitcnt vmcnt(12)                                        // 00000000407C: BF8C0F7C
	s_barrier                                                  // 000000004080: BF8A0000
	v_mfma_i32_16x16x32_i8 v[80:83], a[32:33], a[0:1], v[80:83]// 000000004084: D3D70050 1D420120
	v_mfma_i32_16x16x32_i8 v[80:83], a[34:35], a[2:3], v[80:83]// 00000000408C: D3D70050 1D420522
	buffer_load_dwordx4 a[96:99], v42, s[84:87], 0 offen       // 000000004094: E05C1000 8095602A
	v_mfma_i32_16x16x32_i8 v[80:83], a[36:37], a[4:5], v[80:83]// 00000000409C: D3D70050 1D420924
	v_mfma_i32_16x16x32_i8 v[80:83], a[38:39], a[6:7], v[80:83]// 0000000040A4: D3D70050 1D420D26
	ds_read_b128 a[16:19], v2 offset:8448                      // 0000000040AC: DBFE2100 10000002
	ds_read_b128 a[20:23], v2 offset:8512                      // 0000000040B4: DBFE2140 14000002
	v_mfma_i32_16x16x32_i8 v[88:91], a[40:41], a[0:1], v[88:91]// 0000000040BC: D3D70058 1D620128
	v_mfma_i32_16x16x32_i8 v[88:91], a[42:43], a[2:3], v[88:91]// 0000000040C4: D3D70058 1D62052A
	buffer_load_dwordx4 a[100:103], v42, s[84:87], 0 offen offset:1024// 0000000040CC: E05C1400 8095642A
	v_mfma_i32_16x16x32_i8 v[88:91], a[44:45], a[4:5], v[88:91]// 0000000040D4: D3D70058 1D62092C
	v_mfma_i32_16x16x32_i8 v[88:91], a[46:47], a[6:7], v[88:91]// 0000000040DC: D3D70058 1D620D2E
	ds_read_b128 a[24:27], v2 offset:8960                      // 0000000040E4: DBFE2300 18000002
	ds_read_b128 a[28:31], v2 offset:9024                      // 0000000040EC: DBFE2340 1C000002
	v_mfma_i32_16x16x32_i8 v[96:99], a[48:49], a[0:1], v[96:99]// 0000000040F4: D3D70060 1D820130
	v_mfma_i32_16x16x32_i8 v[96:99], a[50:51], a[2:3], v[96:99]// 0000000040FC: D3D70060 1D820532
	buffer_load_dwordx4 a[104:107], v43, s[84:87], 0 offen     // 000000004104: E05C1000 8095682B
	v_mfma_i32_16x16x32_i8 v[96:99], a[52:53], a[4:5], v[96:99]// 00000000410C: D3D70060 1D820934
	v_mfma_i32_16x16x32_i8 v[96:99], a[54:55], a[6:7], v[96:99]// 000000004114: D3D70060 1D820D36
	v_mfma_i32_16x16x32_i8 v[104:107], a[56:57], a[0:1], v[104:107]// 00000000411C: D3D70068 1DA20138
	v_mfma_i32_16x16x32_i8 v[104:107], a[58:59], a[2:3], v[104:107]// 000000004124: D3D70068 1DA2053A
	buffer_load_dwordx4 a[108:111], v43, s[84:87], 0 offen offset:1024// 00000000412C: E05C1400 80956C2B
	v_mfma_i32_16x16x32_i8 v[104:107], a[60:61], a[4:5], v[104:107]// 000000004134: D3D70068 1DA2093C
	v_mfma_i32_16x16x32_i8 v[104:107], a[62:63], a[6:7], v[104:107]// 00000000413C: D3D70068 1DA20D3E
	v_mfma_i32_16x16x32_i8 v[84:87], a[32:33], a[8:9], v[84:87]// 000000004144: D3D70054 1D521120
	v_mfma_i32_16x16x32_i8 v[84:87], a[34:35], a[10:11], v[84:87]// 00000000414C: D3D70054 1D521522
	buffer_load_dwordx4 a[112:115], v44, s[84:87], 0 offen     // 000000004154: E05C1000 8095702C
	v_mfma_i32_16x16x32_i8 v[84:87], a[36:37], a[12:13], v[84:87]// 00000000415C: D3D70054 1D521924
	v_mfma_i32_16x16x32_i8 v[84:87], a[38:39], a[14:15], v[84:87]// 000000004164: D3D70054 1D521D26
	v_mfma_i32_16x16x32_i8 v[92:95], a[40:41], a[8:9], v[92:95]// 00000000416C: D3D7005C 1D721128
	v_mfma_i32_16x16x32_i8 v[92:95], a[42:43], a[10:11], v[92:95]// 000000004174: D3D7005C 1D72152A
	buffer_load_dwordx4 a[116:119], v44, s[84:87], 0 offen offset:1024// 00000000417C: E05C1400 8095742C
	v_mfma_i32_16x16x32_i8 v[92:95], a[44:45], a[12:13], v[92:95]// 000000004184: D3D7005C 1D72192C
	v_mfma_i32_16x16x32_i8 v[92:95], a[46:47], a[14:15], v[92:95]// 00000000418C: D3D7005C 1D721D2E
	v_mfma_i32_16x16x32_i8 v[100:103], a[48:49], a[8:9], v[100:103]// 000000004194: D3D70064 1D921130
	s_add_u32 s60, 0x180, s80                                  // 00000000419C: 803C50FF 00000180
	s_cmp_lt_u32 s60, s81                                      // 0000000041A4: BF0A513C
	s_cselect_b32 s57, s57, 0                                  // 0000000041A8: 85398039
	v_mfma_i32_16x16x32_i8 v[100:103], a[50:51], a[10:11], v[100:103]// 0000000041AC: D3D70064 1D921532
	buffer_load_dwordx4 a[120:123], v45, s[84:87], 0 offen     // 0000000041B4: E05C1000 8095782D
	s_add_u32 s60, 0x100, s80                                  // 0000000041BC: 803C50FF 00000100
	s_cmp_lt_u32 s60, s81                                      // 0000000041C4: BF0A513C
	s_cselect_b32 s58, s58, 0                                  // 0000000041C8: 853A803A
	v_mfma_i32_16x16x32_i8 v[100:103], a[52:53], a[12:13], v[100:103]// 0000000041CC: D3D70064 1D921934
	s_add_u32 s60, 0x100, s80                                  // 0000000041D4: 803C50FF 00000100
	s_cmp_lt_u32 s60, s81                                      // 0000000041DC: BF0A513C
	s_cselect_b32 s83, s83, 0                                  // 0000000041E0: 85538053
	v_mfma_i32_16x16x32_i8 v[100:103], a[54:55], a[14:15], v[100:103]// 0000000041E4: D3D70064 1D921D36
	s_add_u32 s24, s58, s24                                    // 0000000041EC: 8018183A
	s_addc_u32 s25, 0, s25                                     // 0000000041F0: 82191980
	v_mfma_i32_16x16x32_i8 v[108:111], a[56:57], a[8:9], v[108:111]// 0000000041F4: D3D7006C 1DB21138
	s_add_u32 s20, s57, s20                                    // 0000000041FC: 80141439
	s_addc_u32 s21, 0, s21                                     // 000000004200: 82151580
	v_mfma_i32_16x16x32_i8 v[108:111], a[58:59], a[10:11], v[108:111]// 000000004204: D3D7006C 1DB2153A
	buffer_load_dwordx4 a[124:127], v45, s[84:87], 0 offen offset:1024// 00000000420C: E05C1400 80957C2D
	s_add_u32 s84, s83, s84                                    // 000000004214: 80545453
	s_addc_u32 s85, 0, s85                                     // 000000004218: 82555580
	v_mfma_i32_16x16x32_i8 v[108:111], a[60:61], a[12:13], v[108:111]// 00000000421C: D3D7006C 1DB2193C
	v_mfma_i32_16x16x32_i8 v[108:111], a[62:63], a[14:15], v[108:111]// 000000004224: D3D7006C 1DB21D3E
	s_addk_i32 s80, 0x80                                       // 00000000422C: B7500080
	s_cmp_lt_i32 s80, s81                                      // 000000004230: BF045150
	s_cbranch_scc0 label_06DE                                  // 000000004234: BF8400D0
	s_waitcnt vmcnt(12) lgkmcnt(0)                             // 000000004238: BF8C007C
	v_mfma_i32_16x16x32_i8 v[48:51], a[64:65], a[16:17], v[48:51]// 00000000423C: D3D70030 1CC22140
	v_mfma_i32_16x16x32_i8 v[48:51], a[66:67], a[18:19], v[48:51]// 000000004244: D3D70030 1CC22542
	buffer_load_dwordx4 a[32:35], v42, s[24:27], 0 offen       // 00000000424C: E05C1000 8086202A
	v_mfma_i32_16x16x32_i8 v[48:51], a[68:69], a[20:21], v[48:51]// 000000004254: D3D70030 1CC22944
	v_mfma_i32_16x16x32_i8 v[48:51], a[70:71], a[22:23], v[48:51]// 00000000425C: D3D70030 1CC22D46
	v_mfma_i32_16x16x32_i8 v[56:59], a[72:73], a[16:17], v[56:59]// 000000004264: D3D70038 1CE22148
	v_mfma_i32_16x16x32_i8 v[56:59], a[74:75], a[18:19], v[56:59]// 00000000426C: D3D70038 1CE2254A
	buffer_load_dwordx4 a[36:39], v42, s[24:27], 0 offen offset:1024// 000000004274: E05C1400 8086242A
	v_mfma_i32_16x16x32_i8 v[56:59], a[76:77], a[20:21], v[56:59]// 00000000427C: D3D70038 1CE2294C
	v_mfma_i32_16x16x32_i8 v[56:59], a[78:79], a[22:23], v[56:59]// 000000004284: D3D70038 1CE22D4E
	v_mfma_i32_16x16x32_i8 v[64:67], a[80:81], a[16:17], v[64:67]// 00000000428C: D3D70040 1D022150
	v_mfma_i32_16x16x32_i8 v[64:67], a[82:83], a[18:19], v[64:67]// 000000004294: D3D70040 1D022552
	buffer_load_dwordx4 a[40:43], v43, s[24:27], 0 offen       // 00000000429C: E05C1000 8086282B
	v_mfma_i32_16x16x32_i8 v[64:67], a[84:85], a[20:21], v[64:67]// 0000000042A4: D3D70040 1D022954
	v_mfma_i32_16x16x32_i8 v[64:67], a[86:87], a[22:23], v[64:67]// 0000000042AC: D3D70040 1D022D56
	v_mfma_i32_16x16x32_i8 v[72:75], a[88:89], a[16:17], v[72:75]// 0000000042B4: D3D70048 1D222158
	v_mfma_i32_16x16x32_i8 v[72:75], a[90:91], a[18:19], v[72:75]// 0000000042BC: D3D70048 1D22255A
	buffer_load_dwordx4 a[44:47], v43, s[24:27], 0 offen offset:1024// 0000000042C4: E05C1400 80862C2B
	v_mfma_i32_16x16x32_i8 v[72:75], a[92:93], a[20:21], v[72:75]// 0000000042CC: D3D70048 1D22295C
	v_mfma_i32_16x16x32_i8 v[72:75], a[94:95], a[22:23], v[72:75]// 0000000042D4: D3D70048 1D222D5E
	v_mfma_i32_16x16x32_i8 v[52:55], a[64:65], a[24:25], v[52:55]// 0000000042DC: D3D70034 1CD23140
	v_mfma_i32_16x16x32_i8 v[52:55], a[66:67], a[26:27], v[52:55]// 0000000042E4: D3D70034 1CD23542
	buffer_load_dwordx4 a[48:51], v44, s[24:27], 0 offen       // 0000000042EC: E05C1000 8086302C
	v_mfma_i32_16x16x32_i8 v[52:55], a[68:69], a[28:29], v[52:55]// 0000000042F4: D3D70034 1CD23944
	v_mfma_i32_16x16x32_i8 v[52:55], a[70:71], a[30:31], v[52:55]// 0000000042FC: D3D70034 1CD23D46
	v_mfma_i32_16x16x32_i8 v[60:63], a[72:73], a[24:25], v[60:63]// 000000004304: D3D7003C 1CF23148
	v_mfma_i32_16x16x32_i8 v[60:63], a[74:75], a[26:27], v[60:63]// 00000000430C: D3D7003C 1CF2354A
	buffer_load_dwordx4 a[52:55], v44, s[24:27], 0 offen offset:1024// 000000004314: E05C1400 8086342C
	v_mfma_i32_16x16x32_i8 v[60:63], a[76:77], a[28:29], v[60:63]// 00000000431C: D3D7003C 1CF2394C
	v_mfma_i32_16x16x32_i8 v[60:63], a[78:79], a[30:31], v[60:63]// 000000004324: D3D7003C 1CF23D4E
	v_mfma_i32_16x16x32_i8 v[68:71], a[80:81], a[24:25], v[68:71]// 00000000432C: D3D70044 1D123150
	v_mfma_i32_16x16x32_i8 v[68:71], a[82:83], a[26:27], v[68:71]// 000000004334: D3D70044 1D123552
	buffer_load_dwordx4 a[56:59], v45, s[24:27], 0 offen       // 00000000433C: E05C1000 8086382D
	v_mfma_i32_16x16x32_i8 v[68:71], a[84:85], a[28:29], v[68:71]// 000000004344: D3D70044 1D123954
	v_mfma_i32_16x16x32_i8 v[68:71], a[86:87], a[30:31], v[68:71]// 00000000434C: D3D70044 1D123D56
	v_mfma_i32_16x16x32_i8 v[76:79], a[88:89], a[24:25], v[76:79]// 000000004354: D3D7004C 1D323158
	v_mfma_i32_16x16x32_i8 v[76:79], a[90:91], a[26:27], v[76:79]// 00000000435C: D3D7004C 1D32355A
	buffer_load_dwordx4 a[60:63], v45, s[24:27], 0 offen offset:1024// 000000004364: E05C1400 80863C2D
	buffer_load_dword v38, s[20:23], 0 offen lds               // 00000000436C: E0511000 80050026
	s_add_u32 m0, 0x100, s49                                   // 000000004374: 807C31FF 00000100
	v_mfma_i32_16x16x32_i8 v[76:79], a[92:93], a[28:29], v[76:79]// 00000000437C: D3D7004C 1D32395C
	v_mfma_i32_16x16x32_i8 v[76:79], a[94:95], a[30:31], v[76:79]// 000000004384: D3D7004C 1D323D5E
	buffer_load_dword v39, s[20:23], 0 offen lds               // 00000000438C: E0511000 80050027
	s_add_u32 m0, 0x200, s49                                   // 000000004394: 807C31FF 00000200
	buffer_load_dword v40, s[20:23], 0 offen lds               // 00000000439C: E0511000 80050028
	s_add_u32 m0, 0x300, s49                                   // 0000000043A4: 807C31FF 00000300
	buffer_load_dword v41, s[20:23], 0 offen lds               // 0000000043AC: E0511000 80050029
	s_add_u32 m0, 0, s50                                       // 0000000043B4: 807C3280
	s_waitcnt vmcnt(12)                                        // 0000000043B8: BF8C0F7C
	s_barrier                                                  // 0000000043BC: BF8A0000
	v_mfma_i32_16x16x32_i8 v[80:83], a[96:97], a[16:17], v[80:83]// 0000000043C0: D3D70050 1D422160
	v_mfma_i32_16x16x32_i8 v[80:83], a[98:99], a[18:19], v[80:83]// 0000000043C8: D3D70050 1D422562
	buffer_load_dwordx4 a[64:67], v42, s[84:87], 0 offen       // 0000000043D0: E05C1000 8095402A
	v_mfma_i32_16x16x32_i8 v[80:83], a[100:101], a[20:21], v[80:83]// 0000000043D8: D3D70050 1D422964
	v_mfma_i32_16x16x32_i8 v[80:83], a[102:103], a[22:23], v[80:83]// 0000000043E0: D3D70050 1D422D66
	ds_read_b128 a[0:3], v2                                    // 0000000043E8: DBFE0000 00000002
	ds_read_b128 a[4:7], v2 offset:64                          // 0000000043F0: DBFE0040 04000002
	v_mfma_i32_16x16x32_i8 v[88:91], a[104:105], a[16:17], v[88:91]// 0000000043F8: D3D70058 1D622168
	v_mfma_i32_16x16x32_i8 v[88:91], a[106:107], a[18:19], v[88:91]// 000000004400: D3D70058 1D62256A
	buffer_load_dwordx4 a[68:71], v42, s[84:87], 0 offen offset:1024// 000000004408: E05C1400 8095442A
	v_mfma_i32_16x16x32_i8 v[88:91], a[108:109], a[20:21], v[88:91]// 000000004410: D3D70058 1D62296C
	v_mfma_i32_16x16x32_i8 v[88:91], a[110:111], a[22:23], v[88:91]// 000000004418: D3D70058 1D622D6E
	ds_read_b128 a[8:11], v2 offset:512                        // 000000004420: DBFE0200 08000002
	ds_read_b128 a[12:15], v2 offset:576                       // 000000004428: DBFE0240 0C000002
	v_mfma_i32_16x16x32_i8 v[96:99], a[112:113], a[16:17], v[96:99]// 000000004430: D3D70060 1D822170
	v_mfma_i32_16x16x32_i8 v[96:99], a[114:115], a[18:19], v[96:99]// 000000004438: D3D70060 1D822572
	buffer_load_dwordx4 a[72:75], v43, s[84:87], 0 offen       // 000000004440: E05C1000 8095482B
	v_mfma_i32_16x16x32_i8 v[96:99], a[116:117], a[20:21], v[96:99]// 000000004448: D3D70060 1D822974
	v_mfma_i32_16x16x32_i8 v[96:99], a[118:119], a[22:23], v[96:99]// 000000004450: D3D70060 1D822D76
	v_mfma_i32_16x16x32_i8 v[104:107], a[120:121], a[16:17], v[104:107]// 000000004458: D3D70068 1DA22178
	v_mfma_i32_16x16x32_i8 v[104:107], a[122:123], a[18:19], v[104:107]// 000000004460: D3D70068 1DA2257A
	buffer_load_dwordx4 a[76:79], v43, s[84:87], 0 offen offset:1024// 000000004468: E05C1400 80954C2B
	v_mfma_i32_16x16x32_i8 v[104:107], a[124:125], a[20:21], v[104:107]// 000000004470: D3D70068 1DA2297C
	v_mfma_i32_16x16x32_i8 v[104:107], a[126:127], a[22:23], v[104:107]// 000000004478: D3D70068 1DA22D7E
	v_mfma_i32_16x16x32_i8 v[84:87], a[96:97], a[24:25], v[84:87]// 000000004480: D3D70054 1D523160
	v_mfma_i32_16x16x32_i8 v[84:87], a[98:99], a[26:27], v[84:87]// 000000004488: D3D70054 1D523562
	buffer_load_dwordx4 a[80:83], v44, s[84:87], 0 offen       // 000000004490: E05C1000 8095502C
	v_mfma_i32_16x16x32_i8 v[84:87], a[100:101], a[28:29], v[84:87]// 000000004498: D3D70054 1D523964
	v_mfma_i32_16x16x32_i8 v[84:87], a[102:103], a[30:31], v[84:87]// 0000000044A0: D3D70054 1D523D66
	v_mfma_i32_16x16x32_i8 v[92:95], a[104:105], a[24:25], v[92:95]// 0000000044A8: D3D7005C 1D723168
	v_mfma_i32_16x16x32_i8 v[92:95], a[106:107], a[26:27], v[92:95]// 0000000044B0: D3D7005C 1D72356A
	buffer_load_dwordx4 a[84:87], v44, s[84:87], 0 offen offset:1024// 0000000044B8: E05C1400 8095542C
	v_mfma_i32_16x16x32_i8 v[92:95], a[108:109], a[28:29], v[92:95]// 0000000044C0: D3D7005C 1D72396C
	v_mfma_i32_16x16x32_i8 v[92:95], a[110:111], a[30:31], v[92:95]// 0000000044C8: D3D7005C 1D723D6E
	v_mfma_i32_16x16x32_i8 v[100:103], a[112:113], a[24:25], v[100:103]// 0000000044D0: D3D70064 1D923170
	s_add_u32 s60, 0x180, s80                                  // 0000000044D8: 803C50FF 00000180
	s_cmp_lt_u32 s60, s81                                      // 0000000044E0: BF0A513C
	s_cselect_b32 s57, s57, 0                                  // 0000000044E4: 85398039
	v_mfma_i32_16x16x32_i8 v[100:103], a[114:115], a[26:27], v[100:103]// 0000000044E8: D3D70064 1D923572
	buffer_load_dwordx4 a[88:91], v45, s[84:87], 0 offen       // 0000000044F0: E05C1000 8095582D
	s_add_u32 s60, 0x100, s80                                  // 0000000044F8: 803C50FF 00000100
	s_cmp_lt_u32 s60, s81                                      // 000000004500: BF0A513C
	s_cselect_b32 s58, s58, 0                                  // 000000004504: 853A803A
	v_mfma_i32_16x16x32_i8 v[100:103], a[116:117], a[28:29], v[100:103]// 000000004508: D3D70064 1D923974
	s_add_u32 s60, 0x100, s80                                  // 000000004510: 803C50FF 00000100
	s_cmp_lt_u32 s60, s81                                      // 000000004518: BF0A513C
	s_cselect_b32 s83, s83, 0                                  // 00000000451C: 85538053
	v_mfma_i32_16x16x32_i8 v[100:103], a[118:119], a[30:31], v[100:103]// 000000004520: D3D70064 1D923D76
	s_add_u32 s24, s58, s24                                    // 000000004528: 8018183A
	s_addc_u32 s25, 0, s25                                     // 00000000452C: 82191980
	v_mfma_i32_16x16x32_i8 v[108:111], a[120:121], a[24:25], v[108:111]// 000000004530: D3D7006C 1DB23178
	s_add_u32 s20, s57, s20                                    // 000000004538: 80141439
	s_addc_u32 s21, 0, s21                                     // 00000000453C: 82151580
	v_mfma_i32_16x16x32_i8 v[108:111], a[122:123], a[26:27], v[108:111]// 000000004540: D3D7006C 1DB2357A
	buffer_load_dwordx4 a[92:95], v45, s[84:87], 0 offen offset:1024// 000000004548: E05C1400 80955C2D
	s_add_u32 s84, s83, s84                                    // 000000004550: 80545453
	s_addc_u32 s85, 0, s85                                     // 000000004554: 82555580
	v_mfma_i32_16x16x32_i8 v[108:111], a[124:125], a[28:29], v[108:111]// 000000004558: D3D7006C 1DB2397C
	v_mfma_i32_16x16x32_i8 v[108:111], a[126:127], a[30:31], v[108:111]// 000000004560: D3D7006C 1DB23D7E
	s_addk_i32 s80, 0x80                                       // 000000004568: B7500080
	s_cmp_lt_i32 s80, s81                                      // 00000000456C: BF045150
	s_cbranch_scc0 label_06DE                                  // 000000004570: BF840001
	s_branch label_0203                                        // 000000004574: BF82FB25

0000000000004578 <label_06DE>:
	v_cvt_f32_i32_e32 v48, v48                                 // 000000004578: 7E600B30
	v_cvt_f32_i32_e32 v49, v49                                 // 00000000457C: 7E620B31
	v_cvt_f32_i32_e32 v50, v50                                 // 000000004580: 7E640B32
	v_cvt_f32_i32_e32 v51, v51                                 // 000000004584: 7E660B33
	v_mul_f32_dpp v48, v24, v48 row_newbcast:0 row_mask:0xf bank_mask:0xf// 000000004588: 0A6060FA FF015018
	v_mul_f32_dpp v49, v24, v49 row_newbcast:1 row_mask:0xf bank_mask:0xf// 000000004590: 0A6262FA FF015118
	v_mul_f32_dpp v50, v24, v50 row_newbcast:2 row_mask:0xf bank_mask:0xf// 000000004598: 0A6464FA FF015218
	v_mul_f32_dpp v51, v24, v51 row_newbcast:3 row_mask:0xf bank_mask:0xf// 0000000045A0: 0A6666FA FF015318
	v_cvt_f32_i32_e32 v52, v52                                 // 0000000045A8: 7E680B34
	v_cvt_f32_i32_e32 v53, v53                                 // 0000000045AC: 7E6A0B35
	v_cvt_f32_i32_e32 v54, v54                                 // 0000000045B0: 7E6C0B36
	v_cvt_f32_i32_e32 v55, v55                                 // 0000000045B4: 7E6E0B37
	v_mul_f32_dpp v52, v24, v52 row_newbcast:0 row_mask:0xf bank_mask:0xf// 0000000045B8: 0A6868FA FF015018
	v_mul_f32_dpp v53, v24, v53 row_newbcast:1 row_mask:0xf bank_mask:0xf// 0000000045C0: 0A6A6AFA FF015118
	v_mul_f32_dpp v54, v24, v54 row_newbcast:2 row_mask:0xf bank_mask:0xf// 0000000045C8: 0A6C6CFA FF015218
	v_mul_f32_dpp v55, v24, v55 row_newbcast:3 row_mask:0xf bank_mask:0xf// 0000000045D0: 0A6E6EFA FF015318
	v_cvt_f32_i32_e32 v56, v56                                 // 0000000045D8: 7E700B38
	v_cvt_f32_i32_e32 v57, v57                                 // 0000000045DC: 7E720B39
	v_cvt_f32_i32_e32 v58, v58                                 // 0000000045E0: 7E740B3A
	v_cvt_f32_i32_e32 v59, v59                                 // 0000000045E4: 7E760B3B
	v_mul_f32_dpp v56, v24, v56 row_newbcast:4 row_mask:0xf bank_mask:0xf// 0000000045E8: 0A7070FA FF015418
	v_mul_f32_dpp v57, v24, v57 row_newbcast:5 row_mask:0xf bank_mask:0xf// 0000000045F0: 0A7272FA FF015518
	v_mul_f32_dpp v58, v24, v58 row_newbcast:6 row_mask:0xf bank_mask:0xf// 0000000045F8: 0A7474FA FF015618
	v_mul_f32_dpp v59, v24, v59 row_newbcast:7 row_mask:0xf bank_mask:0xf// 000000004600: 0A7676FA FF015718
	v_cvt_f32_i32_e32 v60, v60                                 // 000000004608: 7E780B3C
	v_cvt_f32_i32_e32 v61, v61                                 // 00000000460C: 7E7A0B3D
	v_cvt_f32_i32_e32 v62, v62                                 // 000000004610: 7E7C0B3E
	v_cvt_f32_i32_e32 v63, v63                                 // 000000004614: 7E7E0B3F
	v_mul_f32_dpp v60, v24, v60 row_newbcast:4 row_mask:0xf bank_mask:0xf// 000000004618: 0A7878FA FF015418
	v_mul_f32_dpp v61, v24, v61 row_newbcast:5 row_mask:0xf bank_mask:0xf// 000000004620: 0A7A7AFA FF015518
	v_mul_f32_dpp v62, v24, v62 row_newbcast:6 row_mask:0xf bank_mask:0xf// 000000004628: 0A7C7CFA FF015618
	v_mul_f32_dpp v63, v24, v63 row_newbcast:7 row_mask:0xf bank_mask:0xf// 000000004630: 0A7E7EFA FF015718
	v_cvt_f32_i32_e32 v64, v64                                 // 000000004638: 7E800B40
	v_cvt_f32_i32_e32 v65, v65                                 // 00000000463C: 7E820B41
	v_cvt_f32_i32_e32 v66, v66                                 // 000000004640: 7E840B42
	v_cvt_f32_i32_e32 v67, v67                                 // 000000004644: 7E860B43
	v_mul_f32_dpp v64, v24, v64 row_newbcast:8 row_mask:0xf bank_mask:0xf// 000000004648: 0A8080FA FF015818
	v_mul_f32_dpp v65, v24, v65 row_newbcast:9 row_mask:0xf bank_mask:0xf// 000000004650: 0A8282FA FF015918
	v_mul_f32_dpp v66, v24, v66 row_newbcast:10 row_mask:0xf bank_mask:0xf// 000000004658: 0A8484FA FF015A18
	v_mul_f32_dpp v67, v24, v67 row_newbcast:11 row_mask:0xf bank_mask:0xf// 000000004660: 0A8686FA FF015B18
	v_cvt_f32_i32_e32 v68, v68                                 // 000000004668: 7E880B44
	v_cvt_f32_i32_e32 v69, v69                                 // 00000000466C: 7E8A0B45
	v_cvt_f32_i32_e32 v70, v70                                 // 000000004670: 7E8C0B46
	v_cvt_f32_i32_e32 v71, v71                                 // 000000004674: 7E8E0B47
	v_mul_f32_dpp v68, v24, v68 row_newbcast:8 row_mask:0xf bank_mask:0xf// 000000004678: 0A8888FA FF015818
	v_mul_f32_dpp v69, v24, v69 row_newbcast:9 row_mask:0xf bank_mask:0xf// 000000004680: 0A8A8AFA FF015918
	v_mul_f32_dpp v70, v24, v70 row_newbcast:10 row_mask:0xf bank_mask:0xf// 000000004688: 0A8C8CFA FF015A18
	v_mul_f32_dpp v71, v24, v71 row_newbcast:11 row_mask:0xf bank_mask:0xf// 000000004690: 0A8E8EFA FF015B18
	v_cvt_f32_i32_e32 v72, v72                                 // 000000004698: 7E900B48
	v_cvt_f32_i32_e32 v73, v73                                 // 00000000469C: 7E920B49
	v_cvt_f32_i32_e32 v74, v74                                 // 0000000046A0: 7E940B4A
	v_cvt_f32_i32_e32 v75, v75                                 // 0000000046A4: 7E960B4B
	v_mul_f32_dpp v72, v24, v72 row_newbcast:12 row_mask:0xf bank_mask:0xf// 0000000046A8: 0A9090FA FF015C18
	v_mul_f32_dpp v73, v24, v73 row_newbcast:13 row_mask:0xf bank_mask:0xf// 0000000046B0: 0A9292FA FF015D18
	v_mul_f32_dpp v74, v24, v74 row_newbcast:14 row_mask:0xf bank_mask:0xf// 0000000046B8: 0A9494FA FF015E18
	v_mul_f32_dpp v75, v24, v75 row_newbcast:15 row_mask:0xf bank_mask:0xf// 0000000046C0: 0A9696FA FF015F18
	v_cvt_f32_i32_e32 v76, v76                                 // 0000000046C8: 7E980B4C
	v_cvt_f32_i32_e32 v77, v77                                 // 0000000046CC: 7E9A0B4D
	v_cvt_f32_i32_e32 v78, v78                                 // 0000000046D0: 7E9C0B4E
	v_cvt_f32_i32_e32 v79, v79                                 // 0000000046D4: 7E9E0B4F
	v_mul_f32_dpp v76, v24, v76 row_newbcast:12 row_mask:0xf bank_mask:0xf// 0000000046D8: 0A9898FA FF015C18
	v_mul_f32_dpp v77, v24, v77 row_newbcast:13 row_mask:0xf bank_mask:0xf// 0000000046E0: 0A9A9AFA FF015D18
	v_mul_f32_dpp v78, v24, v78 row_newbcast:14 row_mask:0xf bank_mask:0xf// 0000000046E8: 0A9C9CFA FF015E18
	v_mul_f32_dpp v79, v24, v79 row_newbcast:15 row_mask:0xf bank_mask:0xf// 0000000046F0: 0A9E9EFA FF015F18
	v_cvt_f32_i32_e32 v80, v80                                 // 0000000046F8: 7EA00B50
	v_cvt_f32_i32_e32 v81, v81                                 // 0000000046FC: 7EA20B51
	v_cvt_f32_i32_e32 v82, v82                                 // 000000004700: 7EA40B52
	v_cvt_f32_i32_e32 v83, v83                                 // 000000004704: 7EA60B53
	v_mul_f32_dpp v80, v27, v80 row_newbcast:0 row_mask:0xf bank_mask:0xf// 000000004708: 0AA0A0FA FF01501B
	v_mul_f32_dpp v81, v27, v81 row_newbcast:1 row_mask:0xf bank_mask:0xf// 000000004710: 0AA2A2FA FF01511B
	v_mul_f32_dpp v82, v27, v82 row_newbcast:2 row_mask:0xf bank_mask:0xf// 000000004718: 0AA4A4FA FF01521B
	v_mul_f32_dpp v83, v27, v83 row_newbcast:3 row_mask:0xf bank_mask:0xf// 000000004720: 0AA6A6FA FF01531B
	v_cvt_f32_i32_e32 v84, v84                                 // 000000004728: 7EA80B54
	v_cvt_f32_i32_e32 v85, v85                                 // 00000000472C: 7EAA0B55
	v_cvt_f32_i32_e32 v86, v86                                 // 000000004730: 7EAC0B56
	v_cvt_f32_i32_e32 v87, v87                                 // 000000004734: 7EAE0B57
	v_mul_f32_dpp v84, v27, v84 row_newbcast:0 row_mask:0xf bank_mask:0xf// 000000004738: 0AA8A8FA FF01501B
	v_mul_f32_dpp v85, v27, v85 row_newbcast:1 row_mask:0xf bank_mask:0xf// 000000004740: 0AAAAAFA FF01511B
	v_mul_f32_dpp v86, v27, v86 row_newbcast:2 row_mask:0xf bank_mask:0xf// 000000004748: 0AACACFA FF01521B
	v_mul_f32_dpp v87, v27, v87 row_newbcast:3 row_mask:0xf bank_mask:0xf// 000000004750: 0AAEAEFA FF01531B
	v_cvt_f32_i32_e32 v88, v88                                 // 000000004758: 7EB00B58
	v_cvt_f32_i32_e32 v89, v89                                 // 00000000475C: 7EB20B59
	v_cvt_f32_i32_e32 v90, v90                                 // 000000004760: 7EB40B5A
	v_cvt_f32_i32_e32 v91, v91                                 // 000000004764: 7EB60B5B
	v_mul_f32_dpp v88, v27, v88 row_newbcast:4 row_mask:0xf bank_mask:0xf// 000000004768: 0AB0B0FA FF01541B
	v_mul_f32_dpp v89, v27, v89 row_newbcast:5 row_mask:0xf bank_mask:0xf// 000000004770: 0AB2B2FA FF01551B
	v_mul_f32_dpp v90, v27, v90 row_newbcast:6 row_mask:0xf bank_mask:0xf// 000000004778: 0AB4B4FA FF01561B
	v_mul_f32_dpp v91, v27, v91 row_newbcast:7 row_mask:0xf bank_mask:0xf// 000000004780: 0AB6B6FA FF01571B
	v_cvt_f32_i32_e32 v92, v92                                 // 000000004788: 7EB80B5C
	v_cvt_f32_i32_e32 v93, v93                                 // 00000000478C: 7EBA0B5D
	v_cvt_f32_i32_e32 v94, v94                                 // 000000004790: 7EBC0B5E
	v_cvt_f32_i32_e32 v95, v95                                 // 000000004794: 7EBE0B5F
	v_mul_f32_dpp v92, v27, v92 row_newbcast:4 row_mask:0xf bank_mask:0xf// 000000004798: 0AB8B8FA FF01541B
	v_mul_f32_dpp v93, v27, v93 row_newbcast:5 row_mask:0xf bank_mask:0xf// 0000000047A0: 0ABABAFA FF01551B
	v_mul_f32_dpp v94, v27, v94 row_newbcast:6 row_mask:0xf bank_mask:0xf// 0000000047A8: 0ABCBCFA FF01561B
	v_mul_f32_dpp v95, v27, v95 row_newbcast:7 row_mask:0xf bank_mask:0xf// 0000000047B0: 0ABEBEFA FF01571B
	v_cvt_f32_i32_e32 v96, v96                                 // 0000000047B8: 7EC00B60
	v_cvt_f32_i32_e32 v97, v97                                 // 0000000047BC: 7EC20B61
	v_cvt_f32_i32_e32 v98, v98                                 // 0000000047C0: 7EC40B62
	v_cvt_f32_i32_e32 v99, v99                                 // 0000000047C4: 7EC60B63
	v_mul_f32_dpp v96, v27, v96 row_newbcast:8 row_mask:0xf bank_mask:0xf// 0000000047C8: 0AC0C0FA FF01581B
	v_mul_f32_dpp v97, v27, v97 row_newbcast:9 row_mask:0xf bank_mask:0xf// 0000000047D0: 0AC2C2FA FF01591B
	v_mul_f32_dpp v98, v27, v98 row_newbcast:10 row_mask:0xf bank_mask:0xf// 0000000047D8: 0AC4C4FA FF015A1B
	v_mul_f32_dpp v99, v27, v99 row_newbcast:11 row_mask:0xf bank_mask:0xf// 0000000047E0: 0AC6C6FA FF015B1B
	v_cvt_f32_i32_e32 v100, v100                               // 0000000047E8: 7EC80B64
	v_cvt_f32_i32_e32 v101, v101                               // 0000000047EC: 7ECA0B65
	v_cvt_f32_i32_e32 v102, v102                               // 0000000047F0: 7ECC0B66
	v_cvt_f32_i32_e32 v103, v103                               // 0000000047F4: 7ECE0B67
	v_mul_f32_dpp v100, v27, v100 row_newbcast:8 row_mask:0xf bank_mask:0xf// 0000000047F8: 0AC8C8FA FF01581B
	v_mul_f32_dpp v101, v27, v101 row_newbcast:9 row_mask:0xf bank_mask:0xf// 000000004800: 0ACACAFA FF01591B
	v_mul_f32_dpp v102, v27, v102 row_newbcast:10 row_mask:0xf bank_mask:0xf// 000000004808: 0ACCCCFA FF015A1B
	v_mul_f32_dpp v103, v27, v103 row_newbcast:11 row_mask:0xf bank_mask:0xf// 000000004810: 0ACECEFA FF015B1B
	v_cvt_f32_i32_e32 v104, v104                               // 000000004818: 7ED00B68
	v_cvt_f32_i32_e32 v105, v105                               // 00000000481C: 7ED20B69
	v_cvt_f32_i32_e32 v106, v106                               // 000000004820: 7ED40B6A
	v_cvt_f32_i32_e32 v107, v107                               // 000000004824: 7ED60B6B
	v_mul_f32_dpp v104, v27, v104 row_newbcast:12 row_mask:0xf bank_mask:0xf// 000000004828: 0AD0D0FA FF015C1B
	v_mul_f32_dpp v105, v27, v105 row_newbcast:13 row_mask:0xf bank_mask:0xf// 000000004830: 0AD2D2FA FF015D1B
	v_mul_f32_dpp v106, v27, v106 row_newbcast:14 row_mask:0xf bank_mask:0xf// 000000004838: 0AD4D4FA FF015E1B
	v_mul_f32_dpp v107, v27, v107 row_newbcast:15 row_mask:0xf bank_mask:0xf// 000000004840: 0AD6D6FA FF015F1B
	v_cvt_f32_i32_e32 v108, v108                               // 000000004848: 7ED80B6C
	v_cvt_f32_i32_e32 v109, v109                               // 00000000484C: 7EDA0B6D
	v_cvt_f32_i32_e32 v110, v110                               // 000000004850: 7EDC0B6E
	v_cvt_f32_i32_e32 v111, v111                               // 000000004854: 7EDE0B6F
	v_mul_f32_dpp v108, v27, v108 row_newbcast:12 row_mask:0xf bank_mask:0xf// 000000004858: 0AD8D8FA FF015C1B
	v_mul_f32_dpp v109, v27, v109 row_newbcast:13 row_mask:0xf bank_mask:0xf// 000000004860: 0ADADAFA FF015D1B
	v_mul_f32_dpp v110, v27, v110 row_newbcast:14 row_mask:0xf bank_mask:0xf// 000000004868: 0ADCDCFA FF015E1B
	v_mul_f32_dpp v111, v27, v111 row_newbcast:15 row_mask:0xf bank_mask:0xf// 000000004870: 0ADEDEFA FF015F1B
	v_mov_b32_e32 v4, v32                                      // 000000004878: 7E080320
	v_mov_b32_e32 v5, v4                                       // 00000000487C: 7E0A0304
	v_pk_mul_f32 v[48:49], v[4:5], v[48:49]                    // 000000004880: D3B14030 18026104
	v_pk_mul_f32 v[80:81], v[4:5], v[80:81]                    // 000000004888: D3B14050 1802A104
	v_pk_mul_f32 v[50:51], v[4:5], v[50:51]                    // 000000004890: D3B14032 18026504
	v_pk_mul_f32 v[82:83], v[4:5], v[82:83]                    // 000000004898: D3B14052 1802A504
	v_pk_mul_f32 v[56:57], v[4:5], v[56:57]                    // 0000000048A0: D3B14038 18027104
	v_pk_mul_f32 v[88:89], v[4:5], v[88:89]                    // 0000000048A8: D3B14058 1802B104
	v_pk_mul_f32 v[58:59], v[4:5], v[58:59]                    // 0000000048B0: D3B1403A 18027504
	v_pk_mul_f32 v[90:91], v[4:5], v[90:91]                    // 0000000048B8: D3B1405A 1802B504
	v_pk_mul_f32 v[64:65], v[4:5], v[64:65]                    // 0000000048C0: D3B14040 18028104
	v_pk_mul_f32 v[96:97], v[4:5], v[96:97]                    // 0000000048C8: D3B14060 1802C104
	v_pk_mul_f32 v[66:67], v[4:5], v[66:67]                    // 0000000048D0: D3B14042 18028504
	v_pk_mul_f32 v[98:99], v[4:5], v[98:99]                    // 0000000048D8: D3B14062 1802C504
	v_pk_mul_f32 v[72:73], v[4:5], v[72:73]                    // 0000000048E0: D3B14048 18029104
	v_pk_mul_f32 v[104:105], v[4:5], v[104:105]                // 0000000048E8: D3B14068 1802D104
	v_pk_mul_f32 v[74:75], v[4:5], v[74:75]                    // 0000000048F0: D3B1404A 18029504
	v_pk_mul_f32 v[106:107], v[4:5], v[106:107]                // 0000000048F8: D3B1406A 1802D504
	v_mov_b32_e32 v4, v33                                      // 000000004900: 7E080321
	v_mov_b32_e32 v5, v4                                       // 000000004904: 7E0A0304
	v_pk_mul_f32 v[52:53], v[4:5], v[52:53]                    // 000000004908: D3B14034 18026904
	v_pk_mul_f32 v[84:85], v[4:5], v[84:85]                    // 000000004910: D3B14054 1802A904
	v_pk_mul_f32 v[54:55], v[4:5], v[54:55]                    // 000000004918: D3B14036 18026D04
	v_pk_mul_f32 v[86:87], v[4:5], v[86:87]                    // 000000004920: D3B14056 1802AD04
	v_pk_mul_f32 v[60:61], v[4:5], v[60:61]                    // 000000004928: D3B1403C 18027904
	v_pk_mul_f32 v[92:93], v[4:5], v[92:93]                    // 000000004930: D3B1405C 1802B904
	v_pk_mul_f32 v[62:63], v[4:5], v[62:63]                    // 000000004938: D3B1403E 18027D04
	v_pk_mul_f32 v[94:95], v[4:5], v[94:95]                    // 000000004940: D3B1405E 1802BD04
	v_pk_mul_f32 v[68:69], v[4:5], v[68:69]                    // 000000004948: D3B14044 18028904
	v_pk_mul_f32 v[100:101], v[4:5], v[100:101]                // 000000004950: D3B14064 1802C904
	v_pk_mul_f32 v[70:71], v[4:5], v[70:71]                    // 000000004958: D3B14046 18028D04
	v_pk_mul_f32 v[102:103], v[4:5], v[102:103]                // 000000004960: D3B14066 1802CD04
	v_pk_mul_f32 v[76:77], v[4:5], v[76:77]                    // 000000004968: D3B1404C 18029904
	v_pk_mul_f32 v[108:109], v[4:5], v[108:109]                // 000000004970: D3B1406C 1802D904
	v_pk_mul_f32 v[78:79], v[4:5], v[78:79]                    // 000000004978: D3B1404E 18029D04
	v_pk_mul_f32 v[110:111], v[4:5], v[110:111]                // 000000004980: D3B1406E 1802DD04
	s_cmp_eq_u32 s88, 0                                        // 000000004988: BF068058
	s_cbranch_scc0 label_0C0D                                  // 00000000498C: BF840429
	s_cmp_eq_u32 s89, 0                                        // 000000004990: BF068059
	s_cbranch_scc1 label_092B                                  // 000000004994: BF850145
	v_mov_b32_e32 v8, v1                                       // 000000004998: 7E100301
	v_mov_b32_e32 v9, v1                                       // 00000000499C: 7E120301
	s_mov_b32 s60, s6                                          // 0000000049A0: BEBC0006
	s_mov_b32 s61, s6                                          // 0000000049A4: BEBD0006
	v_pk_mul_f32 v[4:5], v[48:49], v[48:49]                    // 0000000049A8: D3B14004 18026130
	v_pk_mul_f32 v[6:7], v[50:51], v[50:51]                    // 0000000049B0: D3B14006 18026532
	v_pk_fma_f32 v[4:5], v[4:5], s[78:79], v[8:9]              // 0000000049B8: D3B04004 1C209D04
	v_pk_fma_f32 v[6:7], v[6:7], s[78:79], v[8:9]              // 0000000049C0: D3B04006 1C209D06
	v_pk_mul_f32 v[4:5], v[4:5], v[48:49]                      // 0000000049C8: D3B14004 18026104
	v_pk_mul_f32 v[6:7], v[6:7], v[50:51]                      // 0000000049D0: D3B14006 18026506
	v_pk_mul_f32 v[4:5], v[4:5], s[60:61]                      // 0000000049D8: D3B14004 18007904
	v_pk_mul_f32 v[6:7], v[6:7], s[60:61]                      // 0000000049E0: D3B14006 18007906
	v_exp_f32_e32 v4, v4                                       // 0000000049E8: 7E084104
	v_exp_f32_e32 v5, v5                                       // 0000000049EC: 7E0A4105
	v_exp_f32_e32 v6, v6                                       // 0000000049F0: 7E0C4106
	v_exp_f32_e32 v7, v7                                       // 0000000049F4: 7E0E4107
	v_add_f32_e64 v4, v4, 1.0                                  // 0000000049F8: D1010004 0001E504
	v_add_f32_e64 v5, v5, 1.0                                  // 000000004A00: D1010005 0001E505
	v_add_f32_e64 v6, v6, 1.0                                  // 000000004A08: D1010006 0001E506
	v_add_f32_e64 v7, v7, 1.0                                  // 000000004A10: D1010007 0001E507
	v_rcp_f32_e32 v4, v4                                       // 000000004A18: 7E084504
	v_rcp_f32_e32 v5, v5                                       // 000000004A1C: 7E0A4505
	v_rcp_f32_e32 v6, v6                                       // 000000004A20: 7E0C4506
	v_rcp_f32_e32 v7, v7                                       // 000000004A24: 7E0E4507
	v_mul_f32_e32 v48, v48, v4                                 // 000000004A28: 0A600930
	v_mul_f32_e32 v49, v49, v5                                 // 000000004A2C: 0A620B31
	v_mul_f32_e32 v50, v50, v6                                 // 000000004A30: 0A640D32
	v_mul_f32_e32 v51, v51, v7                                 // 000000004A34: 0A660F33
	v_mul_f32_e32 v48, v48, v80                                // 000000004A38: 0A60A130
	v_mul_f32_e32 v49, v49, v81                                // 000000004A3C: 0A62A331
	v_mul_f32_e32 v50, v50, v82                                // 000000004A40: 0A64A532
	v_mul_f32_e32 v51, v51, v83                                // 000000004A44: 0A66A733
	v_pk_mul_f32 v[4:5], v[52:53], v[52:53]                    // 000000004A48: D3B14004 18026934
	v_pk_mul_f32 v[6:7], v[54:55], v[54:55]                    // 000000004A50: D3B14006 18026D36
	v_pk_fma_f32 v[4:5], v[4:5], s[78:79], v[8:9]              // 000000004A58: D3B04004 1C209D04
	v_pk_fma_f32 v[6:7], v[6:7], s[78:79], v[8:9]              // 000000004A60: D3B04006 1C209D06
	v_pk_mul_f32 v[4:5], v[4:5], v[52:53]                      // 000000004A68: D3B14004 18026904
	v_pk_mul_f32 v[6:7], v[6:7], v[54:55]                      // 000000004A70: D3B14006 18026D06
	v_pk_mul_f32 v[4:5], v[4:5], s[60:61]                      // 000000004A78: D3B14004 18007904
	v_pk_mul_f32 v[6:7], v[6:7], s[60:61]                      // 000000004A80: D3B14006 18007906
	v_exp_f32_e32 v4, v4                                       // 000000004A88: 7E084104
	v_exp_f32_e32 v5, v5                                       // 000000004A8C: 7E0A4105
	v_exp_f32_e32 v6, v6                                       // 000000004A90: 7E0C4106
	v_exp_f32_e32 v7, v7                                       // 000000004A94: 7E0E4107
	v_add_f32_e64 v4, v4, 1.0                                  // 000000004A98: D1010004 0001E504
	v_add_f32_e64 v5, v5, 1.0                                  // 000000004AA0: D1010005 0001E505
	v_add_f32_e64 v6, v6, 1.0                                  // 000000004AA8: D1010006 0001E506
	v_add_f32_e64 v7, v7, 1.0                                  // 000000004AB0: D1010007 0001E507
	v_rcp_f32_e32 v4, v4                                       // 000000004AB8: 7E084504
	v_rcp_f32_e32 v5, v5                                       // 000000004ABC: 7E0A4505
	v_rcp_f32_e32 v6, v6                                       // 000000004AC0: 7E0C4506
	v_rcp_f32_e32 v7, v7                                       // 000000004AC4: 7E0E4507
	v_mul_f32_e32 v52, v52, v4                                 // 000000004AC8: 0A680934
	v_mul_f32_e32 v53, v53, v5                                 // 000000004ACC: 0A6A0B35
	v_mul_f32_e32 v54, v54, v6                                 // 000000004AD0: 0A6C0D36
	v_mul_f32_e32 v55, v55, v7                                 // 000000004AD4: 0A6E0F37
	v_mul_f32_e32 v52, v52, v84                                // 000000004AD8: 0A68A934
	v_mul_f32_e32 v53, v53, v85                                // 000000004ADC: 0A6AAB35
	v_mul_f32_e32 v54, v54, v86                                // 000000004AE0: 0A6CAD36
	v_mul_f32_e32 v55, v55, v87                                // 000000004AE4: 0A6EAF37
	v_pk_mul_f32 v[4:5], v[56:57], v[56:57]                    // 000000004AE8: D3B14004 18027138
	v_pk_mul_f32 v[6:7], v[58:59], v[58:59]                    // 000000004AF0: D3B14006 1802753A
	v_pk_fma_f32 v[4:5], v[4:5], s[78:79], v[8:9]              // 000000004AF8: D3B04004 1C209D04
	v_pk_fma_f32 v[6:7], v[6:7], s[78:79], v[8:9]              // 000000004B00: D3B04006 1C209D06
	v_pk_mul_f32 v[4:5], v[4:5], v[56:57]                      // 000000004B08: D3B14004 18027104
	v_pk_mul_f32 v[6:7], v[6:7], v[58:59]                      // 000000004B10: D3B14006 18027506
	v_pk_mul_f32 v[4:5], v[4:5], s[60:61]                      // 000000004B18: D3B14004 18007904
	v_pk_mul_f32 v[6:7], v[6:7], s[60:61]                      // 000000004B20: D3B14006 18007906
	v_exp_f32_e32 v4, v4                                       // 000000004B28: 7E084104
	v_exp_f32_e32 v5, v5                                       // 000000004B2C: 7E0A4105
	v_exp_f32_e32 v6, v6                                       // 000000004B30: 7E0C4106
	v_exp_f32_e32 v7, v7                                       // 000000004B34: 7E0E4107
	v_add_f32_e64 v4, v4, 1.0                                  // 000000004B38: D1010004 0001E504
	v_add_f32_e64 v5, v5, 1.0                                  // 000000004B40: D1010005 0001E505
	v_add_f32_e64 v6, v6, 1.0                                  // 000000004B48: D1010006 0001E506
	v_add_f32_e64 v7, v7, 1.0                                  // 000000004B50: D1010007 0001E507
	v_rcp_f32_e32 v4, v4                                       // 000000004B58: 7E084504
	v_rcp_f32_e32 v5, v5                                       // 000000004B5C: 7E0A4505
	v_rcp_f32_e32 v6, v6                                       // 000000004B60: 7E0C4506
	v_rcp_f32_e32 v7, v7                                       // 000000004B64: 7E0E4507
	v_mul_f32_e32 v56, v56, v4                                 // 000000004B68: 0A700938
	v_mul_f32_e32 v57, v57, v5                                 // 000000004B6C: 0A720B39
	v_mul_f32_e32 v58, v58, v6                                 // 000000004B70: 0A740D3A
	v_mul_f32_e32 v59, v59, v7                                 // 000000004B74: 0A760F3B
	v_mul_f32_e32 v56, v56, v88                                // 000000004B78: 0A70B138
	v_mul_f32_e32 v57, v57, v89                                // 000000004B7C: 0A72B339
	v_mul_f32_e32 v58, v58, v90                                // 000000004B80: 0A74B53A
	v_mul_f32_e32 v59, v59, v91                                // 000000004B84: 0A76B73B
	v_pk_mul_f32 v[4:5], v[60:61], v[60:61]                    // 000000004B88: D3B14004 1802793C
	v_pk_mul_f32 v[6:7], v[62:63], v[62:63]                    // 000000004B90: D3B14006 18027D3E
	v_pk_fma_f32 v[4:5], v[4:5], s[78:79], v[8:9]              // 000000004B98: D3B04004 1C209D04
	v_pk_fma_f32 v[6:7], v[6:7], s[78:79], v[8:9]              // 000000004BA0: D3B04006 1C209D06
	v_pk_mul_f32 v[4:5], v[4:5], v[60:61]                      // 000000004BA8: D3B14004 18027904
	v_pk_mul_f32 v[6:7], v[6:7], v[62:63]                      // 000000004BB0: D3B14006 18027D06
	v_pk_mul_f32 v[4:5], v[4:5], s[60:61]                      // 000000004BB8: D3B14004 18007904
	v_pk_mul_f32 v[6:7], v[6:7], s[60:61]                      // 000000004BC0: D3B14006 18007906
	v_exp_f32_e32 v4, v4                                       // 000000004BC8: 7E084104
	v_exp_f32_e32 v5, v5                                       // 000000004BCC: 7E0A4105
	v_exp_f32_e32 v6, v6                                       // 000000004BD0: 7E0C4106
	v_exp_f32_e32 v7, v7                                       // 000000004BD4: 7E0E4107
	v_add_f32_e64 v4, v4, 1.0                                  // 000000004BD8: D1010004 0001E504
	v_add_f32_e64 v5, v5, 1.0                                  // 000000004BE0: D1010005 0001E505
	v_add_f32_e64 v6, v6, 1.0                                  // 000000004BE8: D1010006 0001E506
	v_add_f32_e64 v7, v7, 1.0                                  // 000000004BF0: D1010007 0001E507
	v_rcp_f32_e32 v4, v4                                       // 000000004BF8: 7E084504
	v_rcp_f32_e32 v5, v5                                       // 000000004BFC: 7E0A4505
	v_rcp_f32_e32 v6, v6                                       // 000000004C00: 7E0C4506
	v_rcp_f32_e32 v7, v7                                       // 000000004C04: 7E0E4507
	v_mul_f32_e32 v60, v60, v4                                 // 000000004C08: 0A78093C
	v_mul_f32_e32 v61, v61, v5                                 // 000000004C0C: 0A7A0B3D
	v_mul_f32_e32 v62, v62, v6                                 // 000000004C10: 0A7C0D3E
	v_mul_f32_e32 v63, v63, v7                                 // 000000004C14: 0A7E0F3F
	v_mul_f32_e32 v60, v60, v92                                // 000000004C18: 0A78B93C
	v_mul_f32_e32 v61, v61, v93                                // 000000004C1C: 0A7ABB3D
	v_mul_f32_e32 v62, v62, v94                                // 000000004C20: 0A7CBD3E
	v_mul_f32_e32 v63, v63, v95                                // 000000004C24: 0A7EBF3F
	v_pk_mul_f32 v[4:5], v[64:65], v[64:65]                    // 000000004C28: D3B14004 18028140
	v_pk_mul_f32 v[6:7], v[66:67], v[66:67]                    // 000000004C30: D3B14006 18028542
	v_pk_fma_f32 v[4:5], v[4:5], s[78:79], v[8:9]              // 000000004C38: D3B04004 1C209D04
	v_pk_fma_f32 v[6:7], v[6:7], s[78:79], v[8:9]              // 000000004C40: D3B04006 1C209D06
	v_pk_mul_f32 v[4:5], v[4:5], v[64:65]                      // 000000004C48: D3B14004 18028104
	v_pk_mul_f32 v[6:7], v[6:7], v[66:67]                      // 000000004C50: D3B14006 18028506
	v_pk_mul_f32 v[4:5], v[4:5], s[60:61]                      // 000000004C58: D3B14004 18007904
	v_pk_mul_f32 v[6:7], v[6:7], s[60:61]                      // 000000004C60: D3B14006 18007906
	v_exp_f32_e32 v4, v4                                       // 000000004C68: 7E084104
	v_exp_f32_e32 v5, v5                                       // 000000004C6C: 7E0A4105
	v_exp_f32_e32 v6, v6                                       // 000000004C70: 7E0C4106
	v_exp_f32_e32 v7, v7                                       // 000000004C74: 7E0E4107
	v_add_f32_e64 v4, v4, 1.0                                  // 000000004C78: D1010004 0001E504
	v_add_f32_e64 v5, v5, 1.0                                  // 000000004C80: D1010005 0001E505
	v_add_f32_e64 v6, v6, 1.0                                  // 000000004C88: D1010006 0001E506
	v_add_f32_e64 v7, v7, 1.0                                  // 000000004C90: D1010007 0001E507
	v_rcp_f32_e32 v4, v4                                       // 000000004C98: 7E084504
	v_rcp_f32_e32 v5, v5                                       // 000000004C9C: 7E0A4505
	v_rcp_f32_e32 v6, v6                                       // 000000004CA0: 7E0C4506
	v_rcp_f32_e32 v7, v7                                       // 000000004CA4: 7E0E4507
	v_mul_f32_e32 v64, v64, v4                                 // 000000004CA8: 0A800940
	v_mul_f32_e32 v65, v65, v5                                 // 000000004CAC: 0A820B41
	v_mul_f32_e32 v66, v66, v6                                 // 000000004CB0: 0A840D42
	v_mul_f32_e32 v67, v67, v7                                 // 000000004CB4: 0A860F43
	v_mul_f32_e32 v64, v64, v96                                // 000000004CB8: 0A80C140
	v_mul_f32_e32 v65, v65, v97                                // 000000004CBC: 0A82C341
	v_mul_f32_e32 v66, v66, v98                                // 000000004CC0: 0A84C542
	v_mul_f32_e32 v67, v67, v99                                // 000000004CC4: 0A86C743
	v_pk_mul_f32 v[4:5], v[68:69], v[68:69]                    // 000000004CC8: D3B14004 18028944
	v_pk_mul_f32 v[6:7], v[70:71], v[70:71]                    // 000000004CD0: D3B14006 18028D46
	v_pk_fma_f32 v[4:5], v[4:5], s[78:79], v[8:9]              // 000000004CD8: D3B04004 1C209D04
	v_pk_fma_f32 v[6:7], v[6:7], s[78:79], v[8:9]              // 000000004CE0: D3B04006 1C209D06
	v_pk_mul_f32 v[4:5], v[4:5], v[68:69]                      // 000000004CE8: D3B14004 18028904
	v_pk_mul_f32 v[6:7], v[6:7], v[70:71]                      // 000000004CF0: D3B14006 18028D06
	v_pk_mul_f32 v[4:5], v[4:5], s[60:61]                      // 000000004CF8: D3B14004 18007904
	v_pk_mul_f32 v[6:7], v[6:7], s[60:61]                      // 000000004D00: D3B14006 18007906
	v_exp_f32_e32 v4, v4                                       // 000000004D08: 7E084104
	v_exp_f32_e32 v5, v5                                       // 000000004D0C: 7E0A4105
	v_exp_f32_e32 v6, v6                                       // 000000004D10: 7E0C4106
	v_exp_f32_e32 v7, v7                                       // 000000004D14: 7E0E4107
	v_add_f32_e64 v4, v4, 1.0                                  // 000000004D18: D1010004 0001E504
	v_add_f32_e64 v5, v5, 1.0                                  // 000000004D20: D1010005 0001E505
	v_add_f32_e64 v6, v6, 1.0                                  // 000000004D28: D1010006 0001E506
	v_add_f32_e64 v7, v7, 1.0                                  // 000000004D30: D1010007 0001E507
	v_rcp_f32_e32 v4, v4                                       // 000000004D38: 7E084504
	v_rcp_f32_e32 v5, v5                                       // 000000004D3C: 7E0A4505
	v_rcp_f32_e32 v6, v6                                       // 000000004D40: 7E0C4506
	v_rcp_f32_e32 v7, v7                                       // 000000004D44: 7E0E4507
	v_mul_f32_e32 v68, v68, v4                                 // 000000004D48: 0A880944
	v_mul_f32_e32 v69, v69, v5                                 // 000000004D4C: 0A8A0B45
	v_mul_f32_e32 v70, v70, v6                                 // 000000004D50: 0A8C0D46
	v_mul_f32_e32 v71, v71, v7                                 // 000000004D54: 0A8E0F47
	v_mul_f32_e32 v68, v68, v100                               // 000000004D58: 0A88C944
	v_mul_f32_e32 v69, v69, v101                               // 000000004D5C: 0A8ACB45
	v_mul_f32_e32 v70, v70, v102                               // 000000004D60: 0A8CCD46
	v_mul_f32_e32 v71, v71, v103                               // 000000004D64: 0A8ECF47
	v_pk_mul_f32 v[4:5], v[72:73], v[72:73]                    // 000000004D68: D3B14004 18029148
	v_pk_mul_f32 v[6:7], v[74:75], v[74:75]                    // 000000004D70: D3B14006 1802954A
	v_pk_fma_f32 v[4:5], v[4:5], s[78:79], v[8:9]              // 000000004D78: D3B04004 1C209D04
	v_pk_fma_f32 v[6:7], v[6:7], s[78:79], v[8:9]              // 000000004D80: D3B04006 1C209D06
	v_pk_mul_f32 v[4:5], v[4:5], v[72:73]                      // 000000004D88: D3B14004 18029104
	v_pk_mul_f32 v[6:7], v[6:7], v[74:75]                      // 000000004D90: D3B14006 18029506
	v_pk_mul_f32 v[4:5], v[4:5], s[60:61]                      // 000000004D98: D3B14004 18007904
	v_pk_mul_f32 v[6:7], v[6:7], s[60:61]                      // 000000004DA0: D3B14006 18007906
	v_exp_f32_e32 v4, v4                                       // 000000004DA8: 7E084104
	v_exp_f32_e32 v5, v5                                       // 000000004DAC: 7E0A4105
	v_exp_f32_e32 v6, v6                                       // 000000004DB0: 7E0C4106
	v_exp_f32_e32 v7, v7                                       // 000000004DB4: 7E0E4107
	v_add_f32_e64 v4, v4, 1.0                                  // 000000004DB8: D1010004 0001E504
	v_add_f32_e64 v5, v5, 1.0                                  // 000000004DC0: D1010005 0001E505
	v_add_f32_e64 v6, v6, 1.0                                  // 000000004DC8: D1010006 0001E506
	v_add_f32_e64 v7, v7, 1.0                                  // 000000004DD0: D1010007 0001E507
	v_rcp_f32_e32 v4, v4                                       // 000000004DD8: 7E084504
	v_rcp_f32_e32 v5, v5                                       // 000000004DDC: 7E0A4505
	v_rcp_f32_e32 v6, v6                                       // 000000004DE0: 7E0C4506
	v_rcp_f32_e32 v7, v7                                       // 000000004DE4: 7E0E4507
	v_mul_f32_e32 v72, v72, v4                                 // 000000004DE8: 0A900948
	v_mul_f32_e32 v73, v73, v5                                 // 000000004DEC: 0A920B49
	v_mul_f32_e32 v74, v74, v6                                 // 000000004DF0: 0A940D4A
	v_mul_f32_e32 v75, v75, v7                                 // 000000004DF4: 0A960F4B
	v_mul_f32_e32 v72, v72, v104                               // 000000004DF8: 0A90D148
	v_mul_f32_e32 v73, v73, v105                               // 000000004DFC: 0A92D349
	v_mul_f32_e32 v74, v74, v106                               // 000000004E00: 0A94D54A
	v_mul_f32_e32 v75, v75, v107                               // 000000004E04: 0A96D74B
	v_pk_mul_f32 v[4:5], v[76:77], v[76:77]                    // 000000004E08: D3B14004 1802994C
	v_pk_mul_f32 v[6:7], v[78:79], v[78:79]                    // 000000004E10: D3B14006 18029D4E
	v_pk_fma_f32 v[4:5], v[4:5], s[78:79], v[8:9]              // 000000004E18: D3B04004 1C209D04
	v_pk_fma_f32 v[6:7], v[6:7], s[78:79], v[8:9]              // 000000004E20: D3B04006 1C209D06
	v_pk_mul_f32 v[4:5], v[4:5], v[76:77]                      // 000000004E28: D3B14004 18029904
	v_pk_mul_f32 v[6:7], v[6:7], v[78:79]                      // 000000004E30: D3B14006 18029D06
	v_pk_mul_f32 v[4:5], v[4:5], s[60:61]                      // 000000004E38: D3B14004 18007904
	v_pk_mul_f32 v[6:7], v[6:7], s[60:61]                      // 000000004E40: D3B14006 18007906
	v_exp_f32_e32 v4, v4                                       // 000000004E48: 7E084104
	v_exp_f32_e32 v5, v5                                       // 000000004E4C: 7E0A4105
	v_exp_f32_e32 v6, v6                                       // 000000004E50: 7E0C4106
	v_exp_f32_e32 v7, v7                                       // 000000004E54: 7E0E4107
	v_add_f32_e64 v4, v4, 1.0                                  // 000000004E58: D1010004 0001E504
	v_add_f32_e64 v5, v5, 1.0                                  // 000000004E60: D1010005 0001E505
	v_add_f32_e64 v6, v6, 1.0                                  // 000000004E68: D1010006 0001E506
	v_add_f32_e64 v7, v7, 1.0                                  // 000000004E70: D1010007 0001E507
	v_rcp_f32_e32 v4, v4                                       // 000000004E78: 7E084504
	v_rcp_f32_e32 v5, v5                                       // 000000004E7C: 7E0A4505
	v_rcp_f32_e32 v6, v6                                       // 000000004E80: 7E0C4506
	v_rcp_f32_e32 v7, v7                                       // 000000004E84: 7E0E4507
	v_mul_f32_e32 v76, v76, v4                                 // 000000004E88: 0A98094C
	v_mul_f32_e32 v77, v77, v5                                 // 000000004E8C: 0A9A0B4D
	v_mul_f32_e32 v78, v78, v6                                 // 000000004E90: 0A9C0D4E
	v_mul_f32_e32 v79, v79, v7                                 // 000000004E94: 0A9E0F4F
	v_mul_f32_e32 v76, v76, v108                               // 000000004E98: 0A98D94C
	v_mul_f32_e32 v77, v77, v109                               // 000000004E9C: 0A9ADB4D
	v_mul_f32_e32 v78, v78, v110                               // 000000004EA0: 0A9CDD4E
	v_mul_f32_e32 v79, v79, v111                               // 000000004EA4: 0A9EDF4F
	s_branch label_0A2B                                        // 000000004EA8: BF820100

0000000000004eac <label_092B>:
	v_mul_f32_e64 v4, -v48, s6                                 // 000000004EAC: D1050004 20000D30
	v_mul_f32_e64 v5, -v49, s6                                 // 000000004EB4: D1050005 20000D31
	v_mul_f32_e64 v6, -v50, s6                                 // 000000004EBC: D1050006 20000D32
	v_mul_f32_e64 v7, -v51, s6                                 // 000000004EC4: D1050007 20000D33
	v_exp_f32_e32 v4, v4                                       // 000000004ECC: 7E084104
	v_exp_f32_e32 v5, v5                                       // 000000004ED0: 7E0A4105
	v_exp_f32_e32 v6, v6                                       // 000000004ED4: 7E0C4106
	v_exp_f32_e32 v7, v7                                       // 000000004ED8: 7E0E4107
	v_add_f32_e64 v4, v4, 1.0                                  // 000000004EDC: D1010004 0001E504
	v_add_f32_e64 v5, v5, 1.0                                  // 000000004EE4: D1010005 0001E505
	v_add_f32_e64 v6, v6, 1.0                                  // 000000004EEC: D1010006 0001E506
	v_add_f32_e64 v7, v7, 1.0                                  // 000000004EF4: D1010007 0001E507
	v_rcp_f32_e32 v4, v4                                       // 000000004EFC: 7E084504
	v_rcp_f32_e32 v5, v5                                       // 000000004F00: 7E0A4505
	v_rcp_f32_e32 v6, v6                                       // 000000004F04: 7E0C4506
	v_rcp_f32_e32 v7, v7                                       // 000000004F08: 7E0E4507
	v_mul_f32_e32 v48, v48, v4                                 // 000000004F0C: 0A600930
	v_mul_f32_e32 v49, v49, v5                                 // 000000004F10: 0A620B31
	v_mul_f32_e32 v50, v50, v6                                 // 000000004F14: 0A640D32
	v_mul_f32_e32 v51, v51, v7                                 // 000000004F18: 0A660F33
	v_mul_f32_e32 v48, v48, v80                                // 000000004F1C: 0A60A130
	v_mul_f32_e32 v49, v49, v81                                // 000000004F20: 0A62A331
	v_mul_f32_e32 v50, v50, v82                                // 000000004F24: 0A64A532
	v_mul_f32_e32 v51, v51, v83                                // 000000004F28: 0A66A733
	v_mul_f32_e64 v4, -v52, s6                                 // 000000004F2C: D1050004 20000D34
	v_mul_f32_e64 v5, -v53, s6                                 // 000000004F34: D1050005 20000D35
	v_mul_f32_e64 v6, -v54, s6                                 // 000000004F3C: D1050006 20000D36
	v_mul_f32_e64 v7, -v55, s6                                 // 000000004F44: D1050007 20000D37
	v_exp_f32_e32 v4, v4                                       // 000000004F4C: 7E084104
	v_exp_f32_e32 v5, v5                                       // 000000004F50: 7E0A4105
	v_exp_f32_e32 v6, v6                                       // 000000004F54: 7E0C4106
	v_exp_f32_e32 v7, v7                                       // 000000004F58: 7E0E4107
	v_add_f32_e64 v4, v4, 1.0                                  // 000000004F5C: D1010004 0001E504
	v_add_f32_e64 v5, v5, 1.0                                  // 000000004F64: D1010005 0001E505
	v_add_f32_e64 v6, v6, 1.0                                  // 000000004F6C: D1010006 0001E506
	v_add_f32_e64 v7, v7, 1.0                                  // 000000004F74: D1010007 0001E507
	v_rcp_f32_e32 v4, v4                                       // 000000004F7C: 7E084504
	v_rcp_f32_e32 v5, v5                                       // 000000004F80: 7E0A4505
	v_rcp_f32_e32 v6, v6                                       // 000000004F84: 7E0C4506
	v_rcp_f32_e32 v7, v7                                       // 000000004F88: 7E0E4507
	v_mul_f32_e32 v52, v52, v4                                 // 000000004F8C: 0A680934
	v_mul_f32_e32 v53, v53, v5                                 // 000000004F90: 0A6A0B35
	v_mul_f32_e32 v54, v54, v6                                 // 000000004F94: 0A6C0D36
	v_mul_f32_e32 v55, v55, v7                                 // 000000004F98: 0A6E0F37
	v_mul_f32_e32 v52, v52, v84                                // 000000004F9C: 0A68A934
	v_mul_f32_e32 v53, v53, v85                                // 000000004FA0: 0A6AAB35
	v_mul_f32_e32 v54, v54, v86                                // 000000004FA4: 0A6CAD36
	v_mul_f32_e32 v55, v55, v87                                // 000000004FA8: 0A6EAF37
	v_mul_f32_e64 v4, -v56, s6                                 // 000000004FAC: D1050004 20000D38
	v_mul_f32_e64 v5, -v57, s6                                 // 000000004FB4: D1050005 20000D39
	v_mul_f32_e64 v6, -v58, s6                                 // 000000004FBC: D1050006 20000D3A
	v_mul_f32_e64 v7, -v59, s6                                 // 000000004FC4: D1050007 20000D3B
	v_exp_f32_e32 v4, v4                                       // 000000004FCC: 7E084104
	v_exp_f32_e32 v5, v5                                       // 000000004FD0: 7E0A4105
	v_exp_f32_e32 v6, v6                                       // 000000004FD4: 7E0C4106
	v_exp_f32_e32 v7, v7                                       // 000000004FD8: 7E0E4107
	v_add_f32_e64 v4, v4, 1.0                                  // 000000004FDC: D1010004 0001E504
	v_add_f32_e64 v5, v5, 1.0                                  // 000000004FE4: D1010005 0001E505
	v_add_f32_e64 v6, v6, 1.0                                  // 000000004FEC: D1010006 0001E506
	v_add_f32_e64 v7, v7, 1.0                                  // 000000004FF4: D1010007 0001E507
	v_rcp_f32_e32 v4, v4                                       // 000000004FFC: 7E084504
	v_rcp_f32_e32 v5, v5                                       // 000000005000: 7E0A4505
	v_rcp_f32_e32 v6, v6                                       // 000000005004: 7E0C4506
	v_rcp_f32_e32 v7, v7                                       // 000000005008: 7E0E4507
	v_mul_f32_e32 v56, v56, v4                                 // 00000000500C: 0A700938
	v_mul_f32_e32 v57, v57, v5                                 // 000000005010: 0A720B39
	v_mul_f32_e32 v58, v58, v6                                 // 000000005014: 0A740D3A
	v_mul_f32_e32 v59, v59, v7                                 // 000000005018: 0A760F3B
	v_mul_f32_e32 v56, v56, v88                                // 00000000501C: 0A70B138
	v_mul_f32_e32 v57, v57, v89                                // 000000005020: 0A72B339
	v_mul_f32_e32 v58, v58, v90                                // 000000005024: 0A74B53A
	v_mul_f32_e32 v59, v59, v91                                // 000000005028: 0A76B73B
	v_mul_f32_e64 v4, -v60, s6                                 // 00000000502C: D1050004 20000D3C
	v_mul_f32_e64 v5, -v61, s6                                 // 000000005034: D1050005 20000D3D
	v_mul_f32_e64 v6, -v62, s6                                 // 00000000503C: D1050006 20000D3E
	v_mul_f32_e64 v7, -v63, s6                                 // 000000005044: D1050007 20000D3F
	v_exp_f32_e32 v4, v4                                       // 00000000504C: 7E084104
	v_exp_f32_e32 v5, v5                                       // 000000005050: 7E0A4105
	v_exp_f32_e32 v6, v6                                       // 000000005054: 7E0C4106
	v_exp_f32_e32 v7, v7                                       // 000000005058: 7E0E4107
	v_add_f32_e64 v4, v4, 1.0                                  // 00000000505C: D1010004 0001E504
	v_add_f32_e64 v5, v5, 1.0                                  // 000000005064: D1010005 0001E505
	v_add_f32_e64 v6, v6, 1.0                                  // 00000000506C: D1010006 0001E506
	v_add_f32_e64 v7, v7, 1.0                                  // 000000005074: D1010007 0001E507
	v_rcp_f32_e32 v4, v4                                       // 00000000507C: 7E084504
	v_rcp_f32_e32 v5, v5                                       // 000000005080: 7E0A4505
	v_rcp_f32_e32 v6, v6                                       // 000000005084: 7E0C4506
	v_rcp_f32_e32 v7, v7                                       // 000000005088: 7E0E4507
	v_mul_f32_e32 v60, v60, v4                                 // 00000000508C: 0A78093C
	v_mul_f32_e32 v61, v61, v5                                 // 000000005090: 0A7A0B3D
	v_mul_f32_e32 v62, v62, v6                                 // 000000005094: 0A7C0D3E
	v_mul_f32_e32 v63, v63, v7                                 // 000000005098: 0A7E0F3F
	v_mul_f32_e32 v60, v60, v92                                // 00000000509C: 0A78B93C
	v_mul_f32_e32 v61, v61, v93                                // 0000000050A0: 0A7ABB3D
	v_mul_f32_e32 v62, v62, v94                                // 0000000050A4: 0A7CBD3E
	v_mul_f32_e32 v63, v63, v95                                // 0000000050A8: 0A7EBF3F
	v_mul_f32_e64 v4, -v64, s6                                 // 0000000050AC: D1050004 20000D40
	v_mul_f32_e64 v5, -v65, s6                                 // 0000000050B4: D1050005 20000D41
	v_mul_f32_e64 v6, -v66, s6                                 // 0000000050BC: D1050006 20000D42
	v_mul_f32_e64 v7, -v67, s6                                 // 0000000050C4: D1050007 20000D43
	v_exp_f32_e32 v4, v4                                       // 0000000050CC: 7E084104
	v_exp_f32_e32 v5, v5                                       // 0000000050D0: 7E0A4105
	v_exp_f32_e32 v6, v6                                       // 0000000050D4: 7E0C4106
	v_exp_f32_e32 v7, v7                                       // 0000000050D8: 7E0E4107
	v_add_f32_e64 v4, v4, 1.0                                  // 0000000050DC: D1010004 0001E504
	v_add_f32_e64 v5, v5, 1.0                                  // 0000000050E4: D1010005 0001E505
	v_add_f32_e64 v6, v6, 1.0                                  // 0000000050EC: D1010006 0001E506
	v_add_f32_e64 v7, v7, 1.0                                  // 0000000050F4: D1010007 0001E507
	v_rcp_f32_e32 v4, v4                                       // 0000000050FC: 7E084504
	v_rcp_f32_e32 v5, v5                                       // 000000005100: 7E0A4505
	v_rcp_f32_e32 v6, v6                                       // 000000005104: 7E0C4506
	v_rcp_f32_e32 v7, v7                                       // 000000005108: 7E0E4507
	v_mul_f32_e32 v64, v64, v4                                 // 00000000510C: 0A800940
	v_mul_f32_e32 v65, v65, v5                                 // 000000005110: 0A820B41
	v_mul_f32_e32 v66, v66, v6                                 // 000000005114: 0A840D42
	v_mul_f32_e32 v67, v67, v7                                 // 000000005118: 0A860F43
	v_mul_f32_e32 v64, v64, v96                                // 00000000511C: 0A80C140
	v_mul_f32_e32 v65, v65, v97                                // 000000005120: 0A82C341
	v_mul_f32_e32 v66, v66, v98                                // 000000005124: 0A84C542
	v_mul_f32_e32 v67, v67, v99                                // 000000005128: 0A86C743
	v_mul_f32_e64 v4, -v68, s6                                 // 00000000512C: D1050004 20000D44
	v_mul_f32_e64 v5, -v69, s6                                 // 000000005134: D1050005 20000D45
	v_mul_f32_e64 v6, -v70, s6                                 // 00000000513C: D1050006 20000D46
	v_mul_f32_e64 v7, -v71, s6                                 // 000000005144: D1050007 20000D47
	v_exp_f32_e32 v4, v4                                       // 00000000514C: 7E084104
	v_exp_f32_e32 v5, v5                                       // 000000005150: 7E0A4105
	v_exp_f32_e32 v6, v6                                       // 000000005154: 7E0C4106
	v_exp_f32_e32 v7, v7                                       // 000000005158: 7E0E4107
	v_add_f32_e64 v4, v4, 1.0                                  // 00000000515C: D1010004 0001E504
	v_add_f32_e64 v5, v5, 1.0                                  // 000000005164: D1010005 0001E505
	v_add_f32_e64 v6, v6, 1.0                                  // 00000000516C: D1010006 0001E506
	v_add_f32_e64 v7, v7, 1.0                                  // 000000005174: D1010007 0001E507
	v_rcp_f32_e32 v4, v4                                       // 00000000517C: 7E084504
	v_rcp_f32_e32 v5, v5                                       // 000000005180: 7E0A4505
	v_rcp_f32_e32 v6, v6                                       // 000000005184: 7E0C4506
	v_rcp_f32_e32 v7, v7                                       // 000000005188: 7E0E4507
	v_mul_f32_e32 v68, v68, v4                                 // 00000000518C: 0A880944
	v_mul_f32_e32 v69, v69, v5                                 // 000000005190: 0A8A0B45
	v_mul_f32_e32 v70, v70, v6                                 // 000000005194: 0A8C0D46
	v_mul_f32_e32 v71, v71, v7                                 // 000000005198: 0A8E0F47
	v_mul_f32_e32 v68, v68, v100                               // 00000000519C: 0A88C944
	v_mul_f32_e32 v69, v69, v101                               // 0000000051A0: 0A8ACB45
	v_mul_f32_e32 v70, v70, v102                               // 0000000051A4: 0A8CCD46
	v_mul_f32_e32 v71, v71, v103                               // 0000000051A8: 0A8ECF47
	v_mul_f32_e64 v4, -v72, s6                                 // 0000000051AC: D1050004 20000D48
	v_mul_f32_e64 v5, -v73, s6                                 // 0000000051B4: D1050005 20000D49
	v_mul_f32_e64 v6, -v74, s6                                 // 0000000051BC: D1050006 20000D4A
	v_mul_f32_e64 v7, -v75, s6                                 // 0000000051C4: D1050007 20000D4B
	v_exp_f32_e32 v4, v4                                       // 0000000051CC: 7E084104
	v_exp_f32_e32 v5, v5                                       // 0000000051D0: 7E0A4105
	v_exp_f32_e32 v6, v6                                       // 0000000051D4: 7E0C4106
	v_exp_f32_e32 v7, v7                                       // 0000000051D8: 7E0E4107
	v_add_f32_e64 v4, v4, 1.0                                  // 0000000051DC: D1010004 0001E504
	v_add_f32_e64 v5, v5, 1.0                                  // 0000000051E4: D1010005 0001E505
	v_add_f32_e64 v6, v6, 1.0                                  // 0000000051EC: D1010006 0001E506
	v_add_f32_e64 v7, v7, 1.0                                  // 0000000051F4: D1010007 0001E507
	v_rcp_f32_e32 v4, v4                                       // 0000000051FC: 7E084504
	v_rcp_f32_e32 v5, v5                                       // 000000005200: 7E0A4505
	v_rcp_f32_e32 v6, v6                                       // 000000005204: 7E0C4506
	v_rcp_f32_e32 v7, v7                                       // 000000005208: 7E0E4507
	v_mul_f32_e32 v72, v72, v4                                 // 00000000520C: 0A900948
	v_mul_f32_e32 v73, v73, v5                                 // 000000005210: 0A920B49
	v_mul_f32_e32 v74, v74, v6                                 // 000000005214: 0A940D4A
	v_mul_f32_e32 v75, v75, v7                                 // 000000005218: 0A960F4B
	v_mul_f32_e32 v72, v72, v104                               // 00000000521C: 0A90D148
	v_mul_f32_e32 v73, v73, v105                               // 000000005220: 0A92D349
	v_mul_f32_e32 v74, v74, v106                               // 000000005224: 0A94D54A
	v_mul_f32_e32 v75, v75, v107                               // 000000005228: 0A96D74B
	v_mul_f32_e64 v4, -v76, s6                                 // 00000000522C: D1050004 20000D4C
	v_mul_f32_e64 v5, -v77, s6                                 // 000000005234: D1050005 20000D4D
	v_mul_f32_e64 v6, -v78, s6                                 // 00000000523C: D1050006 20000D4E
	v_mul_f32_e64 v7, -v79, s6                                 // 000000005244: D1050007 20000D4F
	v_exp_f32_e32 v4, v4                                       // 00000000524C: 7E084104
	v_exp_f32_e32 v5, v5                                       // 000000005250: 7E0A4105
	v_exp_f32_e32 v6, v6                                       // 000000005254: 7E0C4106
	v_exp_f32_e32 v7, v7                                       // 000000005258: 7E0E4107
	v_add_f32_e64 v4, v4, 1.0                                  // 00000000525C: D1010004 0001E504
	v_add_f32_e64 v5, v5, 1.0                                  // 000000005264: D1010005 0001E505
	v_add_f32_e64 v6, v6, 1.0                                  // 00000000526C: D1010006 0001E506
	v_add_f32_e64 v7, v7, 1.0                                  // 000000005274: D1010007 0001E507
	v_rcp_f32_e32 v4, v4                                       // 00000000527C: 7E084504
	v_rcp_f32_e32 v5, v5                                       // 000000005280: 7E0A4505
	v_rcp_f32_e32 v6, v6                                       // 000000005284: 7E0C4506
	v_rcp_f32_e32 v7, v7                                       // 000000005288: 7E0E4507
	v_mul_f32_e32 v76, v76, v4                                 // 00000000528C: 0A98094C
	v_mul_f32_e32 v77, v77, v5                                 // 000000005290: 0A9A0B4D
	v_mul_f32_e32 v78, v78, v6                                 // 000000005294: 0A9C0D4E
	v_mul_f32_e32 v79, v79, v7                                 // 000000005298: 0A9E0F4F
	v_mul_f32_e32 v76, v76, v108                               // 00000000529C: 0A98D94C
	v_mul_f32_e32 v77, v77, v109                               // 0000000052A0: 0A9ADB4D
	v_mul_f32_e32 v78, v78, v110                               // 0000000052A4: 0A9CDD4E
	v_mul_f32_e32 v79, v79, v111                               // 0000000052A8: 0A9EDF4F

00000000000052ac <label_0A2B>:
	v_cmp_u_f32_e64 s[46:47], v48, v48                         // 0000000052AC: D048002E 00026130
	v_add3_u32 v16, v48, v19, 1                                // 0000000052B4: D1FF0010 02062730
	v_cndmask_b32_e64 v4, v16, v18, s[46:47]                   // 0000000052BC: D1000004 00BA2510
	v_cmp_u_f32_e64 s[46:47], v49, v49                         // 0000000052C4: D048002E 00026331
	v_add3_u32 v16, v49, v19, 1                                // 0000000052CC: D1FF0010 02062731
	v_cndmask_b32_e64 v5, v16, v18, s[46:47]                   // 0000000052D4: D1000005 00BA2510
	v_perm_b32 v48, v5, v4, s52                                // 0000000052DC: D1ED0030 00D20905
	v_cmp_u_f32_e64 s[46:47], v50, v50                         // 0000000052E4: D048002E 00026532
	v_add3_u32 v16, v50, v19, 1                                // 0000000052EC: D1FF0010 02062732
	v_cndmask_b32_e64 v4, v16, v18, s[46:47]                   // 0000000052F4: D1000004 00BA2510
	v_cmp_u_f32_e64 s[46:47], v51, v51                         // 0000000052FC: D048002E 00026733
	v_add3_u32 v16, v51, v19, 1                                // 000000005304: D1FF0010 02062733
	v_cndmask_b32_e64 v5, v16, v18, s[46:47]                   // 00000000530C: D1000005 00BA2510
	v_perm_b32 v49, v5, v4, s52                                // 000000005314: D1ED0031 00D20905
	v_cmp_u_f32_e64 s[46:47], v52, v52                         // 00000000531C: D048002E 00026934
	v_add3_u32 v16, v52, v19, 1                                // 000000005324: D1FF0010 02062734
	v_cndmask_b32_e64 v4, v16, v18, s[46:47]                   // 00000000532C: D1000004 00BA2510
	v_cmp_u_f32_e64 s[46:47], v53, v53                         // 000000005334: D048002E 00026B35
	v_add3_u32 v16, v53, v19, 1                                // 00000000533C: D1FF0010 02062735
	v_cndmask_b32_e64 v5, v16, v18, s[46:47]                   // 000000005344: D1000005 00BA2510
	v_perm_b32 v50, v5, v4, s52                                // 00000000534C: D1ED0032 00D20905
	v_cmp_u_f32_e64 s[46:47], v54, v54                         // 000000005354: D048002E 00026D36
	v_add3_u32 v16, v54, v19, 1                                // 00000000535C: D1FF0010 02062736
	v_cndmask_b32_e64 v4, v16, v18, s[46:47]                   // 000000005364: D1000004 00BA2510
	v_cmp_u_f32_e64 s[46:47], v55, v55                         // 00000000536C: D048002E 00026F37
	v_add3_u32 v16, v55, v19, 1                                // 000000005374: D1FF0010 02062737
	v_cndmask_b32_e64 v5, v16, v18, s[46:47]                   // 00000000537C: D1000005 00BA2510
	v_perm_b32 v51, v5, v4, s52                                // 000000005384: D1ED0033 00D20905
	v_cmp_u_f32_e64 s[46:47], v56, v56                         // 00000000538C: D048002E 00027138
	v_add3_u32 v16, v56, v19, 1                                // 000000005394: D1FF0010 02062738
	v_cndmask_b32_e64 v4, v16, v18, s[46:47]                   // 00000000539C: D1000004 00BA2510
	v_cmp_u_f32_e64 s[46:47], v57, v57                         // 0000000053A4: D048002E 00027339
	v_add3_u32 v16, v57, v19, 1                                // 0000000053AC: D1FF0010 02062739
	v_cndmask_b32_e64 v5, v16, v18, s[46:47]                   // 0000000053B4: D1000005 00BA2510
	v_perm_b32 v52, v5, v4, s52                                // 0000000053BC: D1ED0034 00D20905
	v_cmp_u_f32_e64 s[46:47], v58, v58                         // 0000000053C4: D048002E 0002753A
	v_add3_u32 v16, v58, v19, 1                                // 0000000053CC: D1FF0010 0206273A
	v_cndmask_b32_e64 v4, v16, v18, s[46:47]                   // 0000000053D4: D1000004 00BA2510
	v_cmp_u_f32_e64 s[46:47], v59, v59                         // 0000000053DC: D048002E 0002773B
	v_add3_u32 v16, v59, v19, 1                                // 0000000053E4: D1FF0010 0206273B
	v_cndmask_b32_e64 v5, v16, v18, s[46:47]                   // 0000000053EC: D1000005 00BA2510
	v_perm_b32 v53, v5, v4, s52                                // 0000000053F4: D1ED0035 00D20905
	v_cmp_u_f32_e64 s[46:47], v60, v60                         // 0000000053FC: D048002E 0002793C
	v_add3_u32 v16, v60, v19, 1                                // 000000005404: D1FF0010 0206273C
	v_cndmask_b32_e64 v4, v16, v18, s[46:47]                   // 00000000540C: D1000004 00BA2510
	v_cmp_u_f32_e64 s[46:47], v61, v61                         // 000000005414: D048002E 00027B3D
	v_add3_u32 v16, v61, v19, 1                                // 00000000541C: D1FF0010 0206273D
	v_cndmask_b32_e64 v5, v16, v18, s[46:47]                   // 000000005424: D1000005 00BA2510
	v_perm_b32 v54, v5, v4, s52                                // 00000000542C: D1ED0036 00D20905
	v_cmp_u_f32_e64 s[46:47], v62, v62                         // 000000005434: D048002E 00027D3E
	v_add3_u32 v16, v62, v19, 1                                // 00000000543C: D1FF0010 0206273E
	v_cndmask_b32_e64 v4, v16, v18, s[46:47]                   // 000000005444: D1000004 00BA2510
	v_cmp_u_f32_e64 s[46:47], v63, v63                         // 00000000544C: D048002E 00027F3F
	v_add3_u32 v16, v63, v19, 1                                // 000000005454: D1FF0010 0206273F
	v_cndmask_b32_e64 v5, v16, v18, s[46:47]                   // 00000000545C: D1000005 00BA2510
	v_perm_b32 v55, v5, v4, s52                                // 000000005464: D1ED0037 00D20905
	v_cmp_u_f32_e64 s[46:47], v64, v64                         // 00000000546C: D048002E 00028140
	v_add3_u32 v16, v64, v19, 1                                // 000000005474: D1FF0010 02062740
	v_cndmask_b32_e64 v4, v16, v18, s[46:47]                   // 00000000547C: D1000004 00BA2510
	v_cmp_u_f32_e64 s[46:47], v65, v65                         // 000000005484: D048002E 00028341
	v_add3_u32 v16, v65, v19, 1                                // 00000000548C: D1FF0010 02062741
	v_cndmask_b32_e64 v5, v16, v18, s[46:47]                   // 000000005494: D1000005 00BA2510
	v_perm_b32 v56, v5, v4, s52                                // 00000000549C: D1ED0038 00D20905
	v_cmp_u_f32_e64 s[46:47], v66, v66                         // 0000000054A4: D048002E 00028542
	v_add3_u32 v16, v66, v19, 1                                // 0000000054AC: D1FF0010 02062742
	v_cndmask_b32_e64 v4, v16, v18, s[46:47]                   // 0000000054B4: D1000004 00BA2510
	v_cmp_u_f32_e64 s[46:47], v67, v67                         // 0000000054BC: D048002E 00028743
	v_add3_u32 v16, v67, v19, 1                                // 0000000054C4: D1FF0010 02062743
	v_cndmask_b32_e64 v5, v16, v18, s[46:47]                   // 0000000054CC: D1000005 00BA2510
	v_perm_b32 v57, v5, v4, s52                                // 0000000054D4: D1ED0039 00D20905
	v_cmp_u_f32_e64 s[46:47], v68, v68                         // 0000000054DC: D048002E 00028944
	v_add3_u32 v16, v68, v19, 1                                // 0000000054E4: D1FF0010 02062744
	v_cndmask_b32_e64 v4, v16, v18, s[46:47]                   // 0000000054EC: D1000004 00BA2510
	v_cmp_u_f32_e64 s[46:47], v69, v69                         // 0000000054F4: D048002E 00028B45
	v_add3_u32 v16, v69, v19, 1                                // 0000000054FC: D1FF0010 02062745
	v_cndmask_b32_e64 v5, v16, v18, s[46:47]                   // 000000005504: D1000005 00BA2510
	v_perm_b32 v58, v5, v4, s52                                // 00000000550C: D1ED003A 00D20905
	v_cmp_u_f32_e64 s[46:47], v70, v70                         // 000000005514: D048002E 00028D46
	v_add3_u32 v16, v70, v19, 1                                // 00000000551C: D1FF0010 02062746
	v_cndmask_b32_e64 v4, v16, v18, s[46:47]                   // 000000005524: D1000004 00BA2510
	v_cmp_u_f32_e64 s[46:47], v71, v71                         // 00000000552C: D048002E 00028F47
	v_add3_u32 v16, v71, v19, 1                                // 000000005534: D1FF0010 02062747
	v_cndmask_b32_e64 v5, v16, v18, s[46:47]                   // 00000000553C: D1000005 00BA2510
	v_perm_b32 v59, v5, v4, s52                                // 000000005544: D1ED003B 00D20905
	v_cmp_u_f32_e64 s[46:47], v72, v72                         // 00000000554C: D048002E 00029148
	v_add3_u32 v16, v72, v19, 1                                // 000000005554: D1FF0010 02062748
	v_cndmask_b32_e64 v4, v16, v18, s[46:47]                   // 00000000555C: D1000004 00BA2510
	v_cmp_u_f32_e64 s[46:47], v73, v73                         // 000000005564: D048002E 00029349
	v_add3_u32 v16, v73, v19, 1                                // 00000000556C: D1FF0010 02062749
	v_cndmask_b32_e64 v5, v16, v18, s[46:47]                   // 000000005574: D1000005 00BA2510
	v_perm_b32 v60, v5, v4, s52                                // 00000000557C: D1ED003C 00D20905
	v_cmp_u_f32_e64 s[46:47], v74, v74                         // 000000005584: D048002E 0002954A
	v_add3_u32 v16, v74, v19, 1                                // 00000000558C: D1FF0010 0206274A
	v_cndmask_b32_e64 v4, v16, v18, s[46:47]                   // 000000005594: D1000004 00BA2510
	v_cmp_u_f32_e64 s[46:47], v75, v75                         // 00000000559C: D048002E 0002974B
	v_add3_u32 v16, v75, v19, 1                                // 0000000055A4: D1FF0010 0206274B
	v_cndmask_b32_e64 v5, v16, v18, s[46:47]                   // 0000000055AC: D1000005 00BA2510
	v_perm_b32 v61, v5, v4, s52                                // 0000000055B4: D1ED003D 00D20905
	v_cmp_u_f32_e64 s[46:47], v76, v76                         // 0000000055BC: D048002E 0002994C
	v_add3_u32 v16, v76, v19, 1                                // 0000000055C4: D1FF0010 0206274C
	v_cndmask_b32_e64 v4, v16, v18, s[46:47]                   // 0000000055CC: D1000004 00BA2510
	v_cmp_u_f32_e64 s[46:47], v77, v77                         // 0000000055D4: D048002E 00029B4D
	v_add3_u32 v16, v77, v19, 1                                // 0000000055DC: D1FF0010 0206274D
	v_cndmask_b32_e64 v5, v16, v18, s[46:47]                   // 0000000055E4: D1000005 00BA2510
	v_perm_b32 v62, v5, v4, s52                                // 0000000055EC: D1ED003E 00D20905
	v_cmp_u_f32_e64 s[46:47], v78, v78                         // 0000000055F4: D048002E 00029D4E
	v_add3_u32 v16, v78, v19, 1                                // 0000000055FC: D1FF0010 0206274E
	v_cndmask_b32_e64 v4, v16, v18, s[46:47]                   // 000000005604: D1000004 00BA2510
	v_cmp_u_f32_e64 s[46:47], v79, v79                         // 00000000560C: D048002E 00029F4F
	v_add3_u32 v16, v79, v19, 1                                // 000000005614: D1FF0010 0206274F
	v_cndmask_b32_e64 v5, v16, v18, s[46:47]                   // 00000000561C: D1000005 00BA2510
	v_perm_b32 v63, v5, v4, s52                                // 000000005624: D1ED003F 00D20905
	ds_write_b64 v20, v[48:49]                                 // 00000000562C: D89A0000 00003014
	ds_write_b64 v20, v[50:51] offset:8704                     // 000000005634: D89A2200 00003214
	ds_write_b64 v20, v[52:53] offset:2176                     // 00000000563C: D89A0880 00003414
	ds_write_b64 v20, v[54:55] offset:10880                    // 000000005644: D89A2A80 00003614
	ds_write_b64 v20, v[56:57] offset:4352                     // 00000000564C: D89A1100 00003814
	ds_write_b64 v20, v[58:59] offset:13056                    // 000000005654: D89A3300 00003A14
	ds_write_b64 v20, v[60:61] offset:6528                     // 00000000565C: D89A1980 00003C14
	ds_write_b64 v20, v[62:63] offset:15232                    // 000000005664: D89A3B80 00003E14
	v_lshrrev_b32_e32 v4, 5, v0                                // 00000000566C: 20080085
	v_xor_b32_e32 v5, 1, v4                                    // 000000005670: 2A0A0881
	s_mul_i32 s60, s65, 2                                      // 000000005674: 923C8241
	s_cmp_eq_u32 s88, 0                                        // 000000005678: BF068058
	s_cselect_b32 s61, 1, 4                                    // 00000000567C: 853D8481
	s_mul_i32 s60, s61, s60                                    // 000000005680: 923C3C3D
	v_readlane_b32 s82, v3, 0                                  // 000000005684: D2890052 00010103
	s_lshr_b32 s61, s82, 24                                    // 00000000568C: 8F3D9852
	s_and_b32 s82, s82, 0xffffff                               // 000000005690: 8652FF52 00FFFFFF
	s_mul_i32 s82, s82, s71                                    // 000000005698: 92524752
	s_mul_i32 s61, s60, s61                                    // 00000000569C: 923D3D3C
	s_add_u32 s82, s82, s61                                    // 0000000056A0: 80523D52
	v_mul_lo_u32 v6, v5, s82                                   // 0000000056A4: D2850006 0000A505
	v_readlane_b32 s82, v3, 1                                  // 0000000056AC: D2890052 00010303
	s_lshr_b32 s61, s82, 24                                    // 0000000056B4: 8F3D9852
	s_and_b32 s82, s82, 0xffffff                               // 0000000056B8: 8652FF52 00FFFFFF
	s_mul_i32 s82, s82, s71                                    // 0000000056C0: 92524752
	s_mul_i32 s61, s60, s61                                    // 0000000056C4: 923D3D3C
	s_add_u32 s82, s82, s61                                    // 0000000056C8: 80523D52
	v_mul_lo_u32 v7, v4, s82                                   // 0000000056CC: D2850007 0000A504
	v_add_u32_e32 v38, v6, v7                                  // 0000000056D4: 684C0F06
	v_readlane_b32 s82, v3, 2                                  // 0000000056D8: D2890052 00010503
	s_lshr_b32 s61, s82, 24                                    // 0000000056E0: 8F3D9852
	s_and_b32 s82, s82, 0xffffff                               // 0000000056E4: 8652FF52 00FFFFFF
	s_mul_i32 s82, s82, s71                                    // 0000000056EC: 92524752
	s_mul_i32 s61, s60, s61                                    // 0000000056F0: 923D3D3C
	s_add_u32 s82, s82, s61                                    // 0000000056F4: 80523D52
	v_mul_lo_u32 v6, v5, s82                                   // 0000000056F8: D2850006 0000A505
	v_readlane_b32 s82, v3, 3                                  // 000000005700: D2890052 00010703
	s_lshr_b32 s61, s82, 24                                    // 000000005708: 8F3D9852
	s_and_b32 s82, s82, 0xffffff                               // 00000000570C: 8652FF52 00FFFFFF
	s_mul_i32 s82, s82, s71                                    // 000000005714: 92524752
	s_mul_i32 s61, s60, s61                                    // 000000005718: 923D3D3C
	s_add_u32 s82, s82, s61                                    // 00000000571C: 80523D52
	v_mul_lo_u32 v7, v4, s82                                   // 000000005720: D2850007 0000A504
	v_add_u32_e32 v39, v6, v7                                  // 000000005728: 684E0F06
	v_readlane_b32 s82, v3, 4                                  // 00000000572C: D2890052 00010903
	s_lshr_b32 s61, s82, 24                                    // 000000005734: 8F3D9852
	s_and_b32 s82, s82, 0xffffff                               // 000000005738: 8652FF52 00FFFFFF
	s_mul_i32 s82, s82, s71                                    // 000000005740: 92524752
	s_mul_i32 s61, s60, s61                                    // 000000005744: 923D3D3C
	s_add_u32 s82, s82, s61                                    // 000000005748: 80523D52
	v_mul_lo_u32 v6, v5, s82                                   // 00000000574C: D2850006 0000A505
	v_readlane_b32 s82, v3, 5                                  // 000000005754: D2890052 00010B03
	s_lshr_b32 s61, s82, 24                                    // 00000000575C: 8F3D9852
	s_and_b32 s82, s82, 0xffffff                               // 000000005760: 8652FF52 00FFFFFF
	s_mul_i32 s82, s82, s71                                    // 000000005768: 92524752
	s_mul_i32 s61, s60, s61                                    // 00000000576C: 923D3D3C
	s_add_u32 s82, s82, s61                                    // 000000005770: 80523D52
	v_mul_lo_u32 v7, v4, s82                                   // 000000005774: D2850007 0000A504
	v_add_u32_e32 v40, v6, v7                                  // 00000000577C: 68500F06
	v_readlane_b32 s82, v3, 6                                  // 000000005780: D2890052 00010D03
	s_lshr_b32 s61, s82, 24                                    // 000000005788: 8F3D9852
	s_and_b32 s82, s82, 0xffffff                               // 00000000578C: 8652FF52 00FFFFFF
	s_mul_i32 s82, s82, s71                                    // 000000005794: 92524752
	s_mul_i32 s61, s60, s61                                    // 000000005798: 923D3D3C
	s_add_u32 s82, s82, s61                                    // 00000000579C: 80523D52
	v_mul_lo_u32 v6, v5, s82                                   // 0000000057A0: D2850006 0000A505
	v_readlane_b32 s82, v3, 7                                  // 0000000057A8: D2890052 00010F03
	s_lshr_b32 s61, s82, 24                                    // 0000000057B0: 8F3D9852
	s_and_b32 s82, s82, 0xffffff                               // 0000000057B4: 8652FF52 00FFFFFF
	s_mul_i32 s82, s82, s71                                    // 0000000057BC: 92524752
	s_mul_i32 s61, s60, s61                                    // 0000000057C0: 923D3D3C
	s_add_u32 s82, s82, s61                                    // 0000000057C4: 80523D52
	v_mul_lo_u32 v7, v4, s82                                   // 0000000057C8: D2850007 0000A504
	v_add_u32_e32 v41, v6, v7                                  // 0000000057D0: 68520F06
	v_and_b32_e32 v4, 31, v0                                   // 0000000057D4: 2608009F
	v_lshrrev_b32_e32 v4, 1, v4                                // 0000000057D8: 20080881
	s_cmp_eq_u32 s88, 0                                        // 0000000057DC: BF068058
	s_cselect_b32 s61, 2, 4                                    // 0000000057E0: 853D8482
	v_mul_lo_u32 v4, v4, s61                                   // 0000000057E4: D2850004 00007B04
	v_and_b32_e64 v5, v0, 1                                    // 0000000057EC: D1130005 00010300
	v_add_u32_e32 v4, v4, v5                                   // 0000000057F4: 68080B04
	v_lshlrev_b32_e32 v4, 2, v4                                // 0000000057F8: 24080882
	v_add_u32_e32 v38, v38, v4                                 // 0000000057FC: 684C0926
	v_add_u32_e32 v39, v39, v4                                 // 000000005800: 684E0927
	v_add_u32_e32 v40, v40, v4                                 // 000000005804: 68500928
	v_add_u32_e32 v41, v41, v4                                 // 000000005808: 68520929
	s_waitcnt lgkmcnt(0)                                       // 00000000580C: BF8CC07F
	s_barrier                                                  // 000000005810: BF8A0000
	ds_read_b32 v48, v21                                       // 000000005814: D86C0000 30000015
	ds_read_b32 v49, v21 offset:64                             // 00000000581C: D86C0040 31000015
	ds_read_b32 v50, v21 offset:2176                           // 000000005824: D86C0880 32000015
	ds_read_b32 v51, v21 offset:2240                           // 00000000582C: D86C08C0 33000015
	ds_read_b32 v52, v21 offset:4352                           // 000000005834: D86C1100 34000015
	ds_read_b32 v53, v21 offset:4416                           // 00000000583C: D86C1140 35000015
	ds_read_b32 v54, v21 offset:6528                           // 000000005844: D86C1980 36000015
	ds_read_b32 v55, v21 offset:6592                           // 00000000584C: D86C19C0 37000015
	ds_read_b32 v56, v21 offset:8704                           // 000000005854: D86C2200 38000015
	ds_read_b32 v57, v21 offset:8768                           // 00000000585C: D86C2240 39000015
	ds_read_b32 v58, v21 offset:10880                          // 000000005864: D86C2A80 3A000015
	ds_read_b32 v59, v21 offset:10944                          // 00000000586C: D86C2AC0 3B000015
	ds_read_b32 v60, v21 offset:13056                          // 000000005874: D86C3300 3C000015
	ds_read_b32 v61, v21 offset:13120                          // 00000000587C: D86C3340 3D000015
	ds_read_b32 v62, v21 offset:15232                          // 000000005884: D86C3B80 3E000015
	ds_read_b32 v63, v21 offset:15296                          // 00000000588C: D86C3BC0 3F000015
	s_waitcnt lgkmcnt(0)                                       // 000000005894: BF8CC07F
	s_mov_b32 s36, -1                                          // 000000005898: BEA400C1
	s_mov_b32 s37, -1                                          // 00000000589C: BEA500C1
	v_mov_b32_e32 v7, 0                                        // 0000000058A0: 7E0E0280
	s_or_b32 s9, s9, 0x40000                                   // 0000000058A4: 8709FF09 00040000
	s_mov_b64 exec, s[36:37]                                   // 0000000058AC: BEFE0124
	v_mov_b32_e32 v6, v38                                      // 0000000058B0: 7E0C0326
	s_mov_b64 s[60:61], 0                                      // 0000000058B4: BEBC0180
	v_readlane_b32 s82, v3, 0                                  // 0000000058B8: D2890052 00010103
	s_and_b32 s82, s82, 0xffffff                               // 0000000058C0: 8652FF52 00FFFFFF
	s_cmp_lt_u32 s82, s66                                      // 0000000058C8: BF0A4252
	s_cselect_b32 s20, s36, s60                                // 0000000058CC: 85143C24
	v_readlane_b32 s82, v3, 1                                  // 0000000058D0: D2890052 00010303
	s_and_b32 s82, s82, 0xffffff                               // 0000000058D8: 8652FF52 00FFFFFF
	s_cmp_lt_u32 s82, s66                                      // 0000000058E0: BF0A4252
	s_cselect_b32 s21, s36, s60                                // 0000000058E4: 85153C24
	s_mov_b64 exec, s[20:21]                                   // 0000000058E8: BEFE0114
	buffer_store_dword v48, v6, s[8:11], 0 offen               // 0000000058EC: E0701000 80023006
	buffer_store_dword v50, v6, s[8:11], 0 offen offset:128    // 0000000058F4: E0701080 80023206
	buffer_store_dword v52, v6, s[8:11], 0 offen offset:256    // 0000000058FC: E0701100 80023406
	buffer_store_dword v54, v6, s[8:11], 0 offen offset:384    // 000000005904: E0701180 80023606
	s_mov_b64 exec, s[36:37]                                   // 00000000590C: BEFE0124
	v_mov_b32_e32 v6, v39                                      // 000000005910: 7E0C0327
	s_mov_b64 s[60:61], 0                                      // 000000005914: BEBC0180
	v_readlane_b32 s82, v3, 2                                  // 000000005918: D2890052 00010503
	s_and_b32 s82, s82, 0xffffff                               // 000000005920: 8652FF52 00FFFFFF
	s_cmp_lt_u32 s82, s66                                      // 000000005928: BF0A4252
	s_cselect_b32 s20, s36, s60                                // 00000000592C: 85143C24
	v_readlane_b32 s82, v3, 3                                  // 000000005930: D2890052 00010703
	s_and_b32 s82, s82, 0xffffff                               // 000000005938: 8652FF52 00FFFFFF
	s_cmp_lt_u32 s82, s66                                      // 000000005940: BF0A4252
	s_cselect_b32 s21, s36, s60                                // 000000005944: 85153C24
	s_mov_b64 exec, s[20:21]                                   // 000000005948: BEFE0114
	buffer_store_dword v49, v6, s[8:11], 0 offen               // 00000000594C: E0701000 80023106
	buffer_store_dword v51, v6, s[8:11], 0 offen offset:128    // 000000005954: E0701080 80023306
	buffer_store_dword v53, v6, s[8:11], 0 offen offset:256    // 00000000595C: E0701100 80023506
	buffer_store_dword v55, v6, s[8:11], 0 offen offset:384    // 000000005964: E0701180 80023706
	s_mov_b64 exec, s[36:37]                                   // 00000000596C: BEFE0124
	v_mov_b32_e32 v6, v40                                      // 000000005970: 7E0C0328
	s_mov_b64 s[60:61], 0                                      // 000000005974: BEBC0180
	v_readlane_b32 s82, v3, 4                                  // 000000005978: D2890052 00010903
	s_and_b32 s82, s82, 0xffffff                               // 000000005980: 8652FF52 00FFFFFF
	s_cmp_lt_u32 s82, s66                                      // 000000005988: BF0A4252
	s_cselect_b32 s20, s36, s60                                // 00000000598C: 85143C24
	v_readlane_b32 s82, v3, 5                                  // 000000005990: D2890052 00010B03
	s_and_b32 s82, s82, 0xffffff                               // 000000005998: 8652FF52 00FFFFFF
	s_cmp_lt_u32 s82, s66                                      // 0000000059A0: BF0A4252
	s_cselect_b32 s21, s36, s60                                // 0000000059A4: 85153C24
	s_mov_b64 exec, s[20:21]                                   // 0000000059A8: BEFE0114
	buffer_store_dword v56, v6, s[8:11], 0 offen               // 0000000059AC: E0701000 80023806
	buffer_store_dword v58, v6, s[8:11], 0 offen offset:128    // 0000000059B4: E0701080 80023A06
	buffer_store_dword v60, v6, s[8:11], 0 offen offset:256    // 0000000059BC: E0701100 80023C06
	buffer_store_dword v62, v6, s[8:11], 0 offen offset:384    // 0000000059C4: E0701180 80023E06
	s_mov_b64 exec, s[36:37]                                   // 0000000059CC: BEFE0124
	v_mov_b32_e32 v6, v41                                      // 0000000059D0: 7E0C0329
	s_mov_b64 s[60:61], 0                                      // 0000000059D4: BEBC0180
	v_readlane_b32 s82, v3, 6                                  // 0000000059D8: D2890052 00010D03
	s_and_b32 s82, s82, 0xffffff                               // 0000000059E0: 8652FF52 00FFFFFF
	s_cmp_lt_u32 s82, s66                                      // 0000000059E8: BF0A4252
	s_cselect_b32 s20, s36, s60                                // 0000000059EC: 85143C24
	v_readlane_b32 s82, v3, 7                                  // 0000000059F0: D2890052 00010F03
	s_and_b32 s82, s82, 0xffffff                               // 0000000059F8: 8652FF52 00FFFFFF
	s_cmp_lt_u32 s82, s66                                      // 000000005A00: BF0A4252
	s_cselect_b32 s21, s36, s60                                // 000000005A04: 85153C24
	s_mov_b64 exec, s[20:21]                                   // 000000005A08: BEFE0114
	buffer_store_dword v57, v6, s[8:11], 0 offen               // 000000005A0C: E0701000 80023906
	buffer_store_dword v59, v6, s[8:11], 0 offen offset:128    // 000000005A14: E0701080 80023B06
	buffer_store_dword v61, v6, s[8:11], 0 offen offset:256    // 000000005A1C: E0701100 80023D06
	buffer_store_dword v63, v6, s[8:11], 0 offen offset:384    // 000000005A24: E0701180 80023F06
	s_mov_b64 exec, s[36:37]                                   // 000000005A2C: BEFE0124
	s_branch label_1B9E                                        // 000000005A30: BF820F8E

0000000000005a34 <label_0C0D>:
	ds_write_b64 v20, v[48:49]                                 // 000000005A34: D89A0000 00003014
	ds_write_b64 v20, v[52:53] offset:8704                     // 000000005A3C: D89A2200 00003414
	ds_write_b64 v20, v[56:57] offset:2176                     // 000000005A44: D89A0880 00003814
	ds_write_b64 v20, v[60:61] offset:10880                    // 000000005A4C: D89A2A80 00003C14
	ds_write_b64 v20, v[64:65] offset:4352                     // 000000005A54: D89A1100 00004014
	ds_write_b64 v20, v[68:69] offset:13056                    // 000000005A5C: D89A3300 00004414
	ds_write_b64 v20, v[72:73] offset:6528                     // 000000005A64: D89A1980 00004814
	ds_write_b64 v20, v[76:77] offset:15232                    // 000000005A6C: D89A3B80 00004C14
	v_lshrrev_b32_e32 v4, 5, v0                                // 000000005A74: 20080085
	v_xor_b32_e32 v5, 1, v4                                    // 000000005A78: 2A0A0881
	s_mul_i32 s60, s65, 2                                      // 000000005A7C: 923C8241
	s_cmp_eq_u32 s88, 0                                        // 000000005A80: BF068058
	s_cselect_b32 s61, 1, 4                                    // 000000005A84: 853D8481
	s_mul_i32 s60, s61, s60                                    // 000000005A88: 923C3C3D
	v_readlane_b32 s82, v3, 0                                  // 000000005A8C: D2890052 00010103
	s_lshr_b32 s61, s82, 24                                    // 000000005A94: 8F3D9852
	s_and_b32 s82, s82, 0xffffff                               // 000000005A98: 8652FF52 00FFFFFF
	s_mul_i32 s82, s82, s71                                    // 000000005AA0: 92524752
	s_mul_i32 s61, s60, s61                                    // 000000005AA4: 923D3D3C
	s_add_u32 s82, s82, s61                                    // 000000005AA8: 80523D52
	v_mul_lo_u32 v6, v5, s82                                   // 000000005AAC: D2850006 0000A505
	v_readlane_b32 s82, v3, 1                                  // 000000005AB4: D2890052 00010303
	s_lshr_b32 s61, s82, 24                                    // 000000005ABC: 8F3D9852
	s_and_b32 s82, s82, 0xffffff                               // 000000005AC0: 8652FF52 00FFFFFF
	s_mul_i32 s82, s82, s71                                    // 000000005AC8: 92524752
	s_mul_i32 s61, s60, s61                                    // 000000005ACC: 923D3D3C
	s_add_u32 s82, s82, s61                                    // 000000005AD0: 80523D52
	v_mul_lo_u32 v7, v4, s82                                   // 000000005AD4: D2850007 0000A504
	v_add_u32_e32 v38, v6, v7                                  // 000000005ADC: 684C0F06
	v_readlane_b32 s82, v3, 2                                  // 000000005AE0: D2890052 00010503
	s_lshr_b32 s61, s82, 24                                    // 000000005AE8: 8F3D9852
	s_and_b32 s82, s82, 0xffffff                               // 000000005AEC: 8652FF52 00FFFFFF
	s_mul_i32 s82, s82, s71                                    // 000000005AF4: 92524752
	s_mul_i32 s61, s60, s61                                    // 000000005AF8: 923D3D3C
	s_add_u32 s82, s82, s61                                    // 000000005AFC: 80523D52
	v_mul_lo_u32 v6, v5, s82                                   // 000000005B00: D2850006 0000A505
	v_readlane_b32 s82, v3, 3                                  // 000000005B08: D2890052 00010703
	s_lshr_b32 s61, s82, 24                                    // 000000005B10: 8F3D9852
	s_and_b32 s82, s82, 0xffffff                               // 000000005B14: 8652FF52 00FFFFFF
	s_mul_i32 s82, s82, s71                                    // 000000005B1C: 92524752
	s_mul_i32 s61, s60, s61                                    // 000000005B20: 923D3D3C
	s_add_u32 s82, s82, s61                                    // 000000005B24: 80523D52
	v_mul_lo_u32 v7, v4, s82                                   // 000000005B28: D2850007 0000A504
	v_add_u32_e32 v39, v6, v7                                  // 000000005B30: 684E0F06
	v_readlane_b32 s82, v3, 4                                  // 000000005B34: D2890052 00010903
	s_lshr_b32 s61, s82, 24                                    // 000000005B3C: 8F3D9852
	s_and_b32 s82, s82, 0xffffff                               // 000000005B40: 8652FF52 00FFFFFF
	s_mul_i32 s82, s82, s71                                    // 000000005B48: 92524752
	s_mul_i32 s61, s60, s61                                    // 000000005B4C: 923D3D3C
	s_add_u32 s82, s82, s61                                    // 000000005B50: 80523D52
	v_mul_lo_u32 v6, v5, s82                                   // 000000005B54: D2850006 0000A505
	v_readlane_b32 s82, v3, 5                                  // 000000005B5C: D2890052 00010B03
	s_lshr_b32 s61, s82, 24                                    // 000000005B64: 8F3D9852
	s_and_b32 s82, s82, 0xffffff                               // 000000005B68: 8652FF52 00FFFFFF
	s_mul_i32 s82, s82, s71                                    // 000000005B70: 92524752
	s_mul_i32 s61, s60, s61                                    // 000000005B74: 923D3D3C
	s_add_u32 s82, s82, s61                                    // 000000005B78: 80523D52
	v_mul_lo_u32 v7, v4, s82                                   // 000000005B7C: D2850007 0000A504
	v_add_u32_e32 v40, v6, v7                                  // 000000005B84: 68500F06
	v_readlane_b32 s82, v3, 6                                  // 000000005B88: D2890052 00010D03
	s_lshr_b32 s61, s82, 24                                    // 000000005B90: 8F3D9852
	s_and_b32 s82, s82, 0xffffff                               // 000000005B94: 8652FF52 00FFFFFF
	s_mul_i32 s82, s82, s71                                    // 000000005B9C: 92524752
	s_mul_i32 s61, s60, s61                                    // 000000005BA0: 923D3D3C
	s_add_u32 s82, s82, s61                                    // 000000005BA4: 80523D52
	v_mul_lo_u32 v6, v5, s82                                   // 000000005BA8: D2850006 0000A505
	v_readlane_b32 s82, v3, 7                                  // 000000005BB0: D2890052 00010F03
	s_lshr_b32 s61, s82, 24                                    // 000000005BB8: 8F3D9852
	s_and_b32 s82, s82, 0xffffff                               // 000000005BBC: 8652FF52 00FFFFFF
	s_mul_i32 s82, s82, s71                                    // 000000005BC4: 92524752
	s_mul_i32 s61, s60, s61                                    // 000000005BC8: 923D3D3C
	s_add_u32 s82, s82, s61                                    // 000000005BCC: 80523D52
	v_mul_lo_u32 v7, v4, s82                                   // 000000005BD0: D2850007 0000A504
	v_add_u32_e32 v41, v6, v7                                  // 000000005BD8: 68520F06
	v_and_b32_e32 v4, 31, v0                                   // 000000005BDC: 2608009F
	v_lshrrev_b32_e32 v4, 1, v4                                // 000000005BE0: 20080881
	s_cmp_eq_u32 s88, 0                                        // 000000005BE4: BF068058
	s_cselect_b32 s61, 2, 4                                    // 000000005BE8: 853D8482
	v_mul_lo_u32 v4, v4, s61                                   // 000000005BEC: D2850004 00007B04
	v_and_b32_e64 v5, v0, 1                                    // 000000005BF4: D1130005 00010300
	v_add_u32_e32 v4, v4, v5                                   // 000000005BFC: 68080B04
	v_lshlrev_b32_e32 v4, 2, v4                                // 000000005C00: 24080882
	v_add_u32_e32 v38, v38, v4                                 // 000000005C04: 684C0926
	v_add_u32_e32 v39, v39, v4                                 // 000000005C08: 684E0927
	v_add_u32_e32 v40, v40, v4                                 // 000000005C0C: 68500928
	v_add_u32_e32 v41, v41, v4                                 // 000000005C10: 68520929
	s_waitcnt lgkmcnt(0)                                       // 000000005C14: BF8CC07F
	s_barrier                                                  // 000000005C18: BF8A0000
	ds_read_b32 v48, v21                                       // 000000005C1C: D86C0000 30000015
	ds_read_b32 v49, v21 offset:64                             // 000000005C24: D86C0040 31000015
	ds_read_b32 v52, v21 offset:2176                           // 000000005C2C: D86C0880 34000015
	ds_read_b32 v53, v21 offset:2240                           // 000000005C34: D86C08C0 35000015
	ds_read_b32 v56, v21 offset:4352                           // 000000005C3C: D86C1100 38000015
	ds_read_b32 v57, v21 offset:4416                           // 000000005C44: D86C1140 39000015
	ds_read_b32 v60, v21 offset:6528                           // 000000005C4C: D86C1980 3C000015
	ds_read_b32 v61, v21 offset:6592                           // 000000005C54: D86C19C0 3D000015
	ds_read_b32 v64, v21 offset:8704                           // 000000005C5C: D86C2200 40000015
	ds_read_b32 v65, v21 offset:8768                           // 000000005C64: D86C2240 41000015
	ds_read_b32 v68, v21 offset:10880                          // 000000005C6C: D86C2A80 44000015
	ds_read_b32 v69, v21 offset:10944                          // 000000005C74: D86C2AC0 45000015
	ds_read_b32 v72, v21 offset:13056                          // 000000005C7C: D86C3300 48000015
	ds_read_b32 v73, v21 offset:13120                          // 000000005C84: D86C3340 49000015
	ds_read_b32 v76, v21 offset:15232                          // 000000005C8C: D86C3B80 4C000015
	ds_read_b32 v77, v21 offset:15296                          // 000000005C94: D86C3BC0 4D000015
	s_waitcnt lgkmcnt(0)                                       // 000000005C9C: BF8CC07F
	s_mov_b32 s36, -1                                          // 000000005CA0: BEA400C1
	s_mov_b32 s37, -1                                          // 000000005CA4: BEA500C1
	v_mov_b32_e32 v7, 0                                        // 000000005CA8: 7E0E0280
	s_mov_b64 exec, s[36:37]                                   // 000000005CAC: BEFE0124
	v_mov_b32_e32 v6, v38                                      // 000000005CB0: 7E0C0326
	s_mov_b64 s[60:61], 0                                      // 000000005CB4: BEBC0180
	v_readlane_b32 s82, v3, 0                                  // 000000005CB8: D2890052 00010103
	s_and_b32 s82, s82, 0xffffff                               // 000000005CC0: 8652FF52 00FFFFFF
	s_cmp_lt_u32 s82, s66                                      // 000000005CC8: BF0A4252
	s_cselect_b32 s20, s36, s60                                // 000000005CCC: 85143C24
	v_readlane_b32 s82, v3, 1                                  // 000000005CD0: D2890052 00010303
	s_and_b32 s82, s82, 0xffffff                               // 000000005CD8: 8652FF52 00FFFFFF
	s_cmp_lt_u32 s82, s66                                      // 000000005CE0: BF0A4252
	s_cselect_b32 s21, s36, s60                                // 000000005CE4: 85153C24
	s_mov_b64 exec, s[20:21]                                   // 000000005CE8: BEFE0114
	global_atomic_add_f32 v6, v48, s[8:9]                      // 000000005CEC: DD348000 00083006
	global_atomic_add_f32 v6, v52, s[8:9] offset:256           // 000000005CF4: DD348100 00083406
	global_atomic_add_f32 v6, v56, s[8:9] offset:512           // 000000005CFC: DD348200 00083806
	global_atomic_add_f32 v6, v60, s[8:9] offset:768           // 000000005D04: DD348300 00083C06
	s_mov_b64 exec, s[36:37]                                   // 000000005D0C: BEFE0124
	v_mov_b32_e32 v6, v39                                      // 000000005D10: 7E0C0327
	s_mov_b64 s[60:61], 0                                      // 000000005D14: BEBC0180
	v_readlane_b32 s82, v3, 2                                  // 000000005D18: D2890052 00010503
	s_and_b32 s82, s82, 0xffffff                               // 000000005D20: 8652FF52 00FFFFFF
	s_cmp_lt_u32 s82, s66                                      // 000000005D28: BF0A4252
	s_cselect_b32 s20, s36, s60                                // 000000005D2C: 85143C24
	v_readlane_b32 s82, v3, 3                                  // 000000005D30: D2890052 00010703
	s_and_b32 s82, s82, 0xffffff                               // 000000005D38: 8652FF52 00FFFFFF
	s_cmp_lt_u32 s82, s66                                      // 000000005D40: BF0A4252
	s_cselect_b32 s21, s36, s60                                // 000000005D44: 85153C24
	s_mov_b64 exec, s[20:21]                                   // 000000005D48: BEFE0114
	global_atomic_add_f32 v6, v49, s[8:9]                      // 000000005D4C: DD348000 00083106
	global_atomic_add_f32 v6, v53, s[8:9] offset:256           // 000000005D54: DD348100 00083506
	global_atomic_add_f32 v6, v57, s[8:9] offset:512           // 000000005D5C: DD348200 00083906
	global_atomic_add_f32 v6, v61, s[8:9] offset:768           // 000000005D64: DD348300 00083D06
	s_mov_b64 exec, s[36:37]                                   // 000000005D6C: BEFE0124
	v_mov_b32_e32 v6, v40                                      // 000000005D70: 7E0C0328
	s_mov_b64 s[60:61], 0                                      // 000000005D74: BEBC0180
	v_readlane_b32 s82, v3, 4                                  // 000000005D78: D2890052 00010903
	s_and_b32 s82, s82, 0xffffff                               // 000000005D80: 8652FF52 00FFFFFF
	s_cmp_lt_u32 s82, s66                                      // 000000005D88: BF0A4252
	s_cselect_b32 s20, s36, s60                                // 000000005D8C: 85143C24
	v_readlane_b32 s82, v3, 5                                  // 000000005D90: D2890052 00010B03
	s_and_b32 s82, s82, 0xffffff                               // 000000005D98: 8652FF52 00FFFFFF
	s_cmp_lt_u32 s82, s66                                      // 000000005DA0: BF0A4252
	s_cselect_b32 s21, s36, s60                                // 000000005DA4: 85153C24
	s_mov_b64 exec, s[20:21]                                   // 000000005DA8: BEFE0114
	global_atomic_add_f32 v6, v64, s[8:9]                      // 000000005DAC: DD348000 00084006
	global_atomic_add_f32 v6, v68, s[8:9] offset:256           // 000000005DB4: DD348100 00084406
	global_atomic_add_f32 v6, v72, s[8:9] offset:512           // 000000005DBC: DD348200 00084806
	global_atomic_add_f32 v6, v76, s[8:9] offset:768           // 000000005DC4: DD348300 00084C06
	s_mov_b64 exec, s[36:37]                                   // 000000005DCC: BEFE0124
	v_mov_b32_e32 v6, v41                                      // 000000005DD0: 7E0C0329
	s_mov_b64 s[60:61], 0                                      // 000000005DD4: BEBC0180
	v_readlane_b32 s82, v3, 6                                  // 000000005DD8: D2890052 00010D03
	s_and_b32 s82, s82, 0xffffff                               // 000000005DE0: 8652FF52 00FFFFFF
	s_cmp_lt_u32 s82, s66                                      // 000000005DE8: BF0A4252
	s_cselect_b32 s20, s36, s60                                // 000000005DEC: 85143C24
	v_readlane_b32 s82, v3, 7                                  // 000000005DF0: D2890052 00010F03
	s_and_b32 s82, s82, 0xffffff                               // 000000005DF8: 8652FF52 00FFFFFF
	s_cmp_lt_u32 s82, s66                                      // 000000005E00: BF0A4252
	s_cselect_b32 s21, s36, s60                                // 000000005E04: 85153C24
	s_mov_b64 exec, s[20:21]                                   // 000000005E08: BEFE0114
	global_atomic_add_f32 v6, v65, s[8:9]                      // 000000005E0C: DD348000 00084106
	global_atomic_add_f32 v6, v69, s[8:9] offset:256           // 000000005E14: DD348100 00084506
	global_atomic_add_f32 v6, v73, s[8:9] offset:512           // 000000005E1C: DD348200 00084906
	global_atomic_add_f32 v6, v77, s[8:9] offset:768           // 000000005E24: DD348300 00084D06
	s_mov_b64 exec, s[36:37]                                   // 000000005E2C: BEFE0124
	ds_write_b64 v20, v[50:51]                                 // 000000005E30: D89A0000 00003214
	ds_write_b64 v20, v[54:55] offset:8704                     // 000000005E38: D89A2200 00003614
	ds_write_b64 v20, v[58:59] offset:2176                     // 000000005E40: D89A0880 00003A14
	ds_write_b64 v20, v[62:63] offset:10880                    // 000000005E48: D89A2A80 00003E14
	ds_write_b64 v20, v[66:67] offset:4352                     // 000000005E50: D89A1100 00004214
	ds_write_b64 v20, v[70:71] offset:13056                    // 000000005E58: D89A3300 00004614
	ds_write_b64 v20, v[74:75] offset:6528                     // 000000005E60: D89A1980 00004A14
	ds_write_b64 v20, v[78:79] offset:15232                    // 000000005E68: D89A3B80 00004E14
	s_waitcnt lgkmcnt(0)                                       // 000000005E70: BF8CC07F
	s_barrier                                                  // 000000005E74: BF8A0000
	ds_read_b32 v50, v21                                       // 000000005E78: D86C0000 32000015
	ds_read_b32 v51, v21 offset:64                             // 000000005E80: D86C0040 33000015
	ds_read_b32 v54, v21 offset:2176                           // 000000005E88: D86C0880 36000015
	ds_read_b32 v55, v21 offset:2240                           // 000000005E90: D86C08C0 37000015
	ds_read_b32 v58, v21 offset:4352                           // 000000005E98: D86C1100 3A000015
	ds_read_b32 v59, v21 offset:4416                           // 000000005EA0: D86C1140 3B000015
	ds_read_b32 v62, v21 offset:6528                           // 000000005EA8: D86C1980 3E000015
	ds_read_b32 v63, v21 offset:6592                           // 000000005EB0: D86C19C0 3F000015
	ds_read_b32 v66, v21 offset:8704                           // 000000005EB8: D86C2200 42000015
	ds_read_b32 v67, v21 offset:8768                           // 000000005EC0: D86C2240 43000015
	ds_read_b32 v70, v21 offset:10880                          // 000000005EC8: D86C2A80 46000015
	ds_read_b32 v71, v21 offset:10944                          // 000000005ED0: D86C2AC0 47000015
	ds_read_b32 v74, v21 offset:13056                          // 000000005ED8: D86C3300 4A000015
	ds_read_b32 v75, v21 offset:13120                          // 000000005EE0: D86C3340 4B000015
	ds_read_b32 v78, v21 offset:15232                          // 000000005EE8: D86C3B80 4E000015
	ds_read_b32 v79, v21 offset:15296                          // 000000005EF0: D86C3BC0 4F000015
	s_waitcnt lgkmcnt(0)                                       // 000000005EF8: BF8CC07F
	v_mov_b32_e32 v7, 0                                        // 000000005EFC: 7E0E0280
	s_mov_b64 exec, s[36:37]                                   // 000000005F00: BEFE0124
	v_mov_b32_e32 v6, v38                                      // 000000005F04: 7E0C0326
	s_mov_b64 s[60:61], 0                                      // 000000005F08: BEBC0180
	v_readlane_b32 s82, v3, 0                                  // 000000005F0C: D2890052 00010103
	s_and_b32 s82, s82, 0xffffff                               // 000000005F14: 8652FF52 00FFFFFF
	s_cmp_lt_u32 s82, s66                                      // 000000005F1C: BF0A4252
	s_cselect_b32 s20, s36, s60                                // 000000005F20: 85143C24
	v_readlane_b32 s82, v3, 1                                  // 000000005F24: D2890052 00010303
	s_and_b32 s82, s82, 0xffffff                               // 000000005F2C: 8652FF52 00FFFFFF
	s_cmp_lt_u32 s82, s66                                      // 000000005F34: BF0A4252
	s_cselect_b32 s21, s36, s60                                // 000000005F38: 85153C24
	s_mov_b64 exec, s[20:21]                                   // 000000005F3C: BEFE0114
	global_atomic_add_f32 v6, v50, s[8:9] offset:8             // 000000005F40: DD348008 00083206
	global_atomic_add_f32 v6, v54, s[8:9] offset:264           // 000000005F48: DD348108 00083606
	global_atomic_add_f32 v6, v58, s[8:9] offset:520           // 000000005F50: DD348208 00083A06
	global_atomic_add_f32 v6, v62, s[8:9] offset:776           // 000000005F58: DD348308 00083E06
	s_mov_b64 exec, s[36:37]                                   // 000000005F60: BEFE0124
	v_mov_b32_e32 v6, v39                                      // 000000005F64: 7E0C0327
	s_mov_b64 s[60:61], 0                                      // 000000005F68: BEBC0180
	v_readlane_b32 s82, v3, 2                                  // 000000005F6C: D2890052 00010503
	s_and_b32 s82, s82, 0xffffff                               // 000000005F74: 8652FF52 00FFFFFF
	s_cmp_lt_u32 s82, s66                                      // 000000005F7C: BF0A4252
	s_cselect_b32 s20, s36, s60                                // 000000005F80: 85143C24
	v_readlane_b32 s82, v3, 3                                  // 000000005F84: D2890052 00010703
	s_and_b32 s82, s82, 0xffffff                               // 000000005F8C: 8652FF52 00FFFFFF
	s_cmp_lt_u32 s82, s66                                      // 000000005F94: BF0A4252
	s_cselect_b32 s21, s36, s60                                // 000000005F98: 85153C24
	s_mov_b64 exec, s[20:21]                                   // 000000005F9C: BEFE0114
	global_atomic_add_f32 v6, v51, s[8:9] offset:8             // 000000005FA0: DD348008 00083306
	global_atomic_add_f32 v6, v55, s[8:9] offset:264           // 000000005FA8: DD348108 00083706
	global_atomic_add_f32 v6, v59, s[8:9] offset:520           // 000000005FB0: DD348208 00083B06
	global_atomic_add_f32 v6, v63, s[8:9] offset:776           // 000000005FB8: DD348308 00083F06
	s_mov_b64 exec, s[36:37]                                   // 000000005FC0: BEFE0124
	v_mov_b32_e32 v6, v40                                      // 000000005FC4: 7E0C0328
	s_mov_b64 s[60:61], 0                                      // 000000005FC8: BEBC0180
	v_readlane_b32 s82, v3, 4                                  // 000000005FCC: D2890052 00010903
	s_and_b32 s82, s82, 0xffffff                               // 000000005FD4: 8652FF52 00FFFFFF
	s_cmp_lt_u32 s82, s66                                      // 000000005FDC: BF0A4252
	s_cselect_b32 s20, s36, s60                                // 000000005FE0: 85143C24
	v_readlane_b32 s82, v3, 5                                  // 000000005FE4: D2890052 00010B03
	s_and_b32 s82, s82, 0xffffff                               // 000000005FEC: 8652FF52 00FFFFFF
	s_cmp_lt_u32 s82, s66                                      // 000000005FF4: BF0A4252
	s_cselect_b32 s21, s36, s60                                // 000000005FF8: 85153C24
	s_mov_b64 exec, s[20:21]                                   // 000000005FFC: BEFE0114
	global_atomic_add_f32 v6, v66, s[8:9] offset:8             // 000000006000: DD348008 00084206
	global_atomic_add_f32 v6, v70, s[8:9] offset:264           // 000000006008: DD348108 00084606
	global_atomic_add_f32 v6, v74, s[8:9] offset:520           // 000000006010: DD348208 00084A06
	global_atomic_add_f32 v6, v78, s[8:9] offset:776           // 000000006018: DD348308 00084E06
	s_mov_b64 exec, s[36:37]                                   // 000000006020: BEFE0124
	v_mov_b32_e32 v6, v41                                      // 000000006024: 7E0C0329
	s_mov_b64 s[60:61], 0                                      // 000000006028: BEBC0180
	v_readlane_b32 s82, v3, 6                                  // 00000000602C: D2890052 00010D03
	s_and_b32 s82, s82, 0xffffff                               // 000000006034: 8652FF52 00FFFFFF
	s_cmp_lt_u32 s82, s66                                      // 00000000603C: BF0A4252
	s_cselect_b32 s20, s36, s60                                // 000000006040: 85143C24
	v_readlane_b32 s82, v3, 7                                  // 000000006044: D2890052 00010F03
	s_and_b32 s82, s82, 0xffffff                               // 00000000604C: 8652FF52 00FFFFFF
	s_cmp_lt_u32 s82, s66                                      // 000000006054: BF0A4252
	s_cselect_b32 s21, s36, s60                                // 000000006058: 85153C24
	s_mov_b64 exec, s[20:21]                                   // 00000000605C: BEFE0114
	global_atomic_add_f32 v6, v67, s[8:9] offset:8             // 000000006060: DD348008 00084306
	global_atomic_add_f32 v6, v71, s[8:9] offset:264           // 000000006068: DD348108 00084706
	global_atomic_add_f32 v6, v75, s[8:9] offset:520           // 000000006070: DD348208 00084B06
	global_atomic_add_f32 v6, v79, s[8:9] offset:776           // 000000006078: DD348308 00084F06
	s_mov_b64 exec, s[36:37]                                   // 000000006080: BEFE0124
	ds_write_b64 v20, v[80:81]                                 // 000000006084: D89A0000 00005014
	ds_write_b64 v20, v[84:85] offset:8704                     // 00000000608C: D89A2200 00005414
	ds_write_b64 v20, v[88:89] offset:2176                     // 000000006094: D89A0880 00005814
	ds_write_b64 v20, v[92:93] offset:10880                    // 00000000609C: D89A2A80 00005C14
	ds_write_b64 v20, v[96:97] offset:4352                     // 0000000060A4: D89A1100 00006014
	ds_write_b64 v20, v[100:101] offset:13056                  // 0000000060AC: D89A3300 00006414
	ds_write_b64 v20, v[104:105] offset:6528                   // 0000000060B4: D89A1980 00006814
	ds_write_b64 v20, v[108:109] offset:15232                  // 0000000060BC: D89A3B80 00006C14
	s_waitcnt lgkmcnt(0)                                       // 0000000060C4: BF8CC07F
	s_barrier                                                  // 0000000060C8: BF8A0000
	ds_read_b32 v80, v21                                       // 0000000060CC: D86C0000 50000015
	ds_read_b32 v81, v21 offset:64                             // 0000000060D4: D86C0040 51000015
	ds_read_b32 v84, v21 offset:2176                           // 0000000060DC: D86C0880 54000015
	ds_read_b32 v85, v21 offset:2240                           // 0000000060E4: D86C08C0 55000015
	ds_read_b32 v88, v21 offset:4352                           // 0000000060EC: D86C1100 58000015
	ds_read_b32 v89, v21 offset:4416                           // 0000000060F4: D86C1140 59000015
	ds_read_b32 v92, v21 offset:6528                           // 0000000060FC: D86C1980 5C000015
	ds_read_b32 v93, v21 offset:6592                           // 000000006104: D86C19C0 5D000015
	ds_read_b32 v96, v21 offset:8704                           // 00000000610C: D86C2200 60000015
	ds_read_b32 v97, v21 offset:8768                           // 000000006114: D86C2240 61000015
	ds_read_b32 v100, v21 offset:10880                         // 00000000611C: D86C2A80 64000015
	ds_read_b32 v101, v21 offset:10944                         // 000000006124: D86C2AC0 65000015
	ds_read_b32 v104, v21 offset:13056                         // 00000000612C: D86C3300 68000015
	ds_read_b32 v105, v21 offset:13120                         // 000000006134: D86C3340 69000015
	ds_read_b32 v108, v21 offset:15232                         // 00000000613C: D86C3B80 6C000015
	ds_read_b32 v109, v21 offset:15296                         // 000000006144: D86C3BC0 6D000015
	s_mul_i32 s60, s65, 4                                      // 00000000614C: 923C8441
	s_add_u32 s8, s60, s8                                      // 000000006150: 8008083C
	s_addc_u32 s9, 0, s9                                       // 000000006154: 82090980
	s_waitcnt lgkmcnt(0)                                       // 000000006158: BF8CC07F
	v_mov_b32_e32 v7, 0                                        // 00000000615C: 7E0E0280
	s_mov_b64 exec, s[36:37]                                   // 000000006160: BEFE0124
	v_mov_b32_e32 v6, v38                                      // 000000006164: 7E0C0326
	s_mov_b64 s[60:61], 0                                      // 000000006168: BEBC0180
	v_readlane_b32 s82, v3, 0                                  // 00000000616C: D2890052 00010103
	s_and_b32 s82, s82, 0xffffff                               // 000000006174: 8652FF52 00FFFFFF
	s_cmp_lt_u32 s82, s66                                      // 00000000617C: BF0A4252
	s_cselect_b32 s20, s36, s60                                // 000000006180: 85143C24
	v_readlane_b32 s82, v3, 1                                  // 000000006184: D2890052 00010303
	s_and_b32 s82, s82, 0xffffff                               // 00000000618C: 8652FF52 00FFFFFF
	s_cmp_lt_u32 s82, s66                                      // 000000006194: BF0A4252
	s_cselect_b32 s21, s36, s60                                // 000000006198: 85153C24
	s_mov_b64 exec, s[20:21]                                   // 00000000619C: BEFE0114
	global_atomic_add_f32 v6, v80, s[8:9]                      // 0000000061A0: DD348000 00085006
	global_atomic_add_f32 v6, v84, s[8:9] offset:256           // 0000000061A8: DD348100 00085406
	global_atomic_add_f32 v6, v88, s[8:9] offset:512           // 0000000061B0: DD348200 00085806
	global_atomic_add_f32 v6, v92, s[8:9] offset:768           // 0000000061B8: DD348300 00085C06
	s_mov_b64 exec, s[36:37]                                   // 0000000061C0: BEFE0124
	v_mov_b32_e32 v6, v39                                      // 0000000061C4: 7E0C0327
	s_mov_b64 s[60:61], 0                                      // 0000000061C8: BEBC0180
	v_readlane_b32 s82, v3, 2                                  // 0000000061CC: D2890052 00010503
	s_and_b32 s82, s82, 0xffffff                               // 0000000061D4: 8652FF52 00FFFFFF
	s_cmp_lt_u32 s82, s66                                      // 0000000061DC: BF0A4252
	s_cselect_b32 s20, s36, s60                                // 0000000061E0: 85143C24
	v_readlane_b32 s82, v3, 3                                  // 0000000061E4: D2890052 00010703
	s_and_b32 s82, s82, 0xffffff                               // 0000000061EC: 8652FF52 00FFFFFF
	s_cmp_lt_u32 s82, s66                                      // 0000000061F4: BF0A4252
	s_cselect_b32 s21, s36, s60                                // 0000000061F8: 85153C24
	s_mov_b64 exec, s[20:21]                                   // 0000000061FC: BEFE0114
	global_atomic_add_f32 v6, v81, s[8:9]                      // 000000006200: DD348000 00085106
	global_atomic_add_f32 v6, v85, s[8:9] offset:256           // 000000006208: DD348100 00085506
	global_atomic_add_f32 v6, v89, s[8:9] offset:512           // 000000006210: DD348200 00085906
	global_atomic_add_f32 v6, v93, s[8:9] offset:768           // 000000006218: DD348300 00085D06
	s_mov_b64 exec, s[36:37]                                   // 000000006220: BEFE0124
	v_mov_b32_e32 v6, v40                                      // 000000006224: 7E0C0328
	s_mov_b64 s[60:61], 0                                      // 000000006228: BEBC0180
	v_readlane_b32 s82, v3, 4                                  // 00000000622C: D2890052 00010903
	s_and_b32 s82, s82, 0xffffff                               // 000000006234: 8652FF52 00FFFFFF
	s_cmp_lt_u32 s82, s66                                      // 00000000623C: BF0A4252
	s_cselect_b32 s20, s36, s60                                // 000000006240: 85143C24
	v_readlane_b32 s82, v3, 5                                  // 000000006244: D2890052 00010B03
	s_and_b32 s82, s82, 0xffffff                               // 00000000624C: 8652FF52 00FFFFFF
	s_cmp_lt_u32 s82, s66                                      // 000000006254: BF0A4252
	s_cselect_b32 s21, s36, s60                                // 000000006258: 85153C24
	s_mov_b64 exec, s[20:21]                                   // 00000000625C: BEFE0114
	global_atomic_add_f32 v6, v96, s[8:9]                      // 000000006260: DD348000 00086006
	global_atomic_add_f32 v6, v100, s[8:9] offset:256          // 000000006268: DD348100 00086406
	global_atomic_add_f32 v6, v104, s[8:9] offset:512          // 000000006270: DD348200 00086806
	global_atomic_add_f32 v6, v108, s[8:9] offset:768          // 000000006278: DD348300 00086C06
	s_mov_b64 exec, s[36:37]                                   // 000000006280: BEFE0124
	v_mov_b32_e32 v6, v41                                      // 000000006284: 7E0C0329
	s_mov_b64 s[60:61], 0                                      // 000000006288: BEBC0180
	v_readlane_b32 s82, v3, 6                                  // 00000000628C: D2890052 00010D03
	s_and_b32 s82, s82, 0xffffff                               // 000000006294: 8652FF52 00FFFFFF
	s_cmp_lt_u32 s82, s66                                      // 00000000629C: BF0A4252
	s_cselect_b32 s20, s36, s60                                // 0000000062A0: 85143C24
	v_readlane_b32 s82, v3, 7                                  // 0000000062A4: D2890052 00010F03
	s_and_b32 s82, s82, 0xffffff                               // 0000000062AC: 8652FF52 00FFFFFF
	s_cmp_lt_u32 s82, s66                                      // 0000000062B4: BF0A4252
	s_cselect_b32 s21, s36, s60                                // 0000000062B8: 85153C24
	s_mov_b64 exec, s[20:21]                                   // 0000000062BC: BEFE0114
	global_atomic_add_f32 v6, v97, s[8:9]                      // 0000000062C0: DD348000 00086106
	global_atomic_add_f32 v6, v101, s[8:9] offset:256          // 0000000062C8: DD348100 00086506
	global_atomic_add_f32 v6, v105, s[8:9] offset:512          // 0000000062D0: DD348200 00086906
	global_atomic_add_f32 v6, v109, s[8:9] offset:768          // 0000000062D8: DD348300 00086D06
	s_mov_b64 exec, s[36:37]                                   // 0000000062E0: BEFE0124
	ds_write_b64 v20, v[82:83]                                 // 0000000062E4: D89A0000 00005214
	ds_write_b64 v20, v[86:87] offset:8704                     // 0000000062EC: D89A2200 00005614
	ds_write_b64 v20, v[90:91] offset:2176                     // 0000000062F4: D89A0880 00005A14
	ds_write_b64 v20, v[94:95] offset:10880                    // 0000000062FC: D89A2A80 00005E14
	ds_write_b64 v20, v[98:99] offset:4352                     // 000000006304: D89A1100 00006214
	ds_write_b64 v20, v[102:103] offset:13056                  // 00000000630C: D89A3300 00006614
	ds_write_b64 v20, v[106:107] offset:6528                   // 000000006314: D89A1980 00006A14
	ds_write_b64 v20, v[110:111] offset:15232                  // 00000000631C: D89A3B80 00006E14
	s_waitcnt lgkmcnt(0)                                       // 000000006324: BF8CC07F
	s_barrier                                                  // 000000006328: BF8A0000
	ds_read_b32 v82, v21                                       // 00000000632C: D86C0000 52000015
	ds_read_b32 v83, v21 offset:64                             // 000000006334: D86C0040 53000015
	ds_read_b32 v86, v21 offset:2176                           // 00000000633C: D86C0880 56000015
	ds_read_b32 v87, v21 offset:2240                           // 000000006344: D86C08C0 57000015
	ds_read_b32 v90, v21 offset:4352                           // 00000000634C: D86C1100 5A000015
	ds_read_b32 v91, v21 offset:4416                           // 000000006354: D86C1140 5B000015
	ds_read_b32 v94, v21 offset:6528                           // 00000000635C: D86C1980 5E000015
	ds_read_b32 v95, v21 offset:6592                           // 000000006364: D86C19C0 5F000015
	ds_read_b32 v98, v21 offset:8704                           // 00000000636C: D86C2200 62000015
	ds_read_b32 v99, v21 offset:8768                           // 000000006374: D86C2240 63000015
	ds_read_b32 v102, v21 offset:10880                         // 00000000637C: D86C2A80 66000015
	ds_read_b32 v103, v21 offset:10944                         // 000000006384: D86C2AC0 67000015
	ds_read_b32 v106, v21 offset:13056                         // 00000000638C: D86C3300 6A000015
	ds_read_b32 v107, v21 offset:13120                         // 000000006394: D86C3340 6B000015
	ds_read_b32 v110, v21 offset:15232                         // 00000000639C: D86C3B80 6E000015
	ds_read_b32 v111, v21 offset:15296                         // 0000000063A4: D86C3BC0 6F000015
	s_waitcnt lgkmcnt(0)                                       // 0000000063AC: BF8CC07F
	v_mov_b32_e32 v7, 0                                        // 0000000063B0: 7E0E0280
	s_mov_b64 exec, s[36:37]                                   // 0000000063B4: BEFE0124
	v_mov_b32_e32 v6, v38                                      // 0000000063B8: 7E0C0326
	s_mov_b64 s[60:61], 0                                      // 0000000063BC: BEBC0180
	v_readlane_b32 s82, v3, 0                                  // 0000000063C0: D2890052 00010103
	s_and_b32 s82, s82, 0xffffff                               // 0000000063C8: 8652FF52 00FFFFFF
	s_cmp_lt_u32 s82, s66                                      // 0000000063D0: BF0A4252
	s_cselect_b32 s20, s36, s60                                // 0000000063D4: 85143C24
	v_readlane_b32 s82, v3, 1                                  // 0000000063D8: D2890052 00010303
	s_and_b32 s82, s82, 0xffffff                               // 0000000063E0: 8652FF52 00FFFFFF
	s_cmp_lt_u32 s82, s66                                      // 0000000063E8: BF0A4252
	s_cselect_b32 s21, s36, s60                                // 0000000063EC: 85153C24
	s_mov_b64 exec, s[20:21]                                   // 0000000063F0: BEFE0114
	global_atomic_add_f32 v6, v82, s[8:9] offset:8             // 0000000063F4: DD348008 00085206
	global_atomic_add_f32 v6, v86, s[8:9] offset:264           // 0000000063FC: DD348108 00085606
	global_atomic_add_f32 v6, v90, s[8:9] offset:520           // 000000006404: DD348208 00085A06
	global_atomic_add_f32 v6, v94, s[8:9] offset:776           // 00000000640C: DD348308 00085E06
	s_mov_b64 exec, s[36:37]                                   // 000000006414: BEFE0124
	v_mov_b32_e32 v6, v39                                      // 000000006418: 7E0C0327
	s_mov_b64 s[60:61], 0                                      // 00000000641C: BEBC0180
	v_readlane_b32 s82, v3, 2                                  // 000000006420: D2890052 00010503
	s_and_b32 s82, s82, 0xffffff                               // 000000006428: 8652FF52 00FFFFFF
	s_cmp_lt_u32 s82, s66                                      // 000000006430: BF0A4252
	s_cselect_b32 s20, s36, s60                                // 000000006434: 85143C24
	v_readlane_b32 s82, v3, 3                                  // 000000006438: D2890052 00010703
	s_and_b32 s82, s82, 0xffffff                               // 000000006440: 8652FF52 00FFFFFF
	s_cmp_lt_u32 s82, s66                                      // 000000006448: BF0A4252
	s_cselect_b32 s21, s36, s60                                // 00000000644C: 85153C24
	s_mov_b64 exec, s[20:21]                                   // 000000006450: BEFE0114
	global_atomic_add_f32 v6, v83, s[8:9] offset:8             // 000000006454: DD348008 00085306
	global_atomic_add_f32 v6, v87, s[8:9] offset:264           // 00000000645C: DD348108 00085706
	global_atomic_add_f32 v6, v91, s[8:9] offset:520           // 000000006464: DD348208 00085B06
	global_atomic_add_f32 v6, v95, s[8:9] offset:776           // 00000000646C: DD348308 00085F06
	s_mov_b64 exec, s[36:37]                                   // 000000006474: BEFE0124
	v_mov_b32_e32 v6, v40                                      // 000000006478: 7E0C0328
	s_mov_b64 s[60:61], 0                                      // 00000000647C: BEBC0180
	v_readlane_b32 s82, v3, 4                                  // 000000006480: D2890052 00010903
	s_and_b32 s82, s82, 0xffffff                               // 000000006488: 8652FF52 00FFFFFF
	s_cmp_lt_u32 s82, s66                                      // 000000006490: BF0A4252
	s_cselect_b32 s20, s36, s60                                // 000000006494: 85143C24
	v_readlane_b32 s82, v3, 5                                  // 000000006498: D2890052 00010B03
	s_and_b32 s82, s82, 0xffffff                               // 0000000064A0: 8652FF52 00FFFFFF
	s_cmp_lt_u32 s82, s66                                      // 0000000064A8: BF0A4252
	s_cselect_b32 s21, s36, s60                                // 0000000064AC: 85153C24
	s_mov_b64 exec, s[20:21]                                   // 0000000064B0: BEFE0114
	global_atomic_add_f32 v6, v98, s[8:9] offset:8             // 0000000064B4: DD348008 00086206
	global_atomic_add_f32 v6, v102, s[8:9] offset:264          // 0000000064BC: DD348108 00086606
	global_atomic_add_f32 v6, v106, s[8:9] offset:520          // 0000000064C4: DD348208 00086A06
	global_atomic_add_f32 v6, v110, s[8:9] offset:776          // 0000000064CC: DD348308 00086E06
	s_mov_b64 exec, s[36:37]                                   // 0000000064D4: BEFE0124
	v_mov_b32_e32 v6, v41                                      // 0000000064D8: 7E0C0329
	s_mov_b64 s[60:61], 0                                      // 0000000064DC: BEBC0180
	v_readlane_b32 s82, v3, 6                                  // 0000000064E0: D2890052 00010D03
	s_and_b32 s82, s82, 0xffffff                               // 0000000064E8: 8652FF52 00FFFFFF
	s_cmp_lt_u32 s82, s66                                      // 0000000064F0: BF0A4252
	s_cselect_b32 s20, s36, s60                                // 0000000064F4: 85143C24
	v_readlane_b32 s82, v3, 7                                  // 0000000064F8: D2890052 00010F03
	s_and_b32 s82, s82, 0xffffff                               // 000000006500: 8652FF52 00FFFFFF
	s_cmp_lt_u32 s82, s66                                      // 000000006508: BF0A4252
	s_cselect_b32 s21, s36, s60                                // 00000000650C: 85153C24
	s_mov_b64 exec, s[20:21]                                   // 000000006510: BEFE0114
	global_atomic_add_f32 v6, v99, s[8:9] offset:8             // 000000006514: DD348008 00086306
	global_atomic_add_f32 v6, v103, s[8:9] offset:264          // 00000000651C: DD348108 00086706
	global_atomic_add_f32 v6, v107, s[8:9] offset:520          // 000000006524: DD348208 00086B06
	global_atomic_add_f32 v6, v111, s[8:9] offset:776          // 00000000652C: DD348308 00086F06
	s_mov_b64 exec, s[36:37]                                   // 000000006534: BEFE0124
	s_branch label_1B9E                                        // 000000006538: BF820CCC

000000000000653c <label_0ED2>:
	s_waitcnt vmcnt(12) lgkmcnt(0)                             // 00000000653C: BF8C007C
	v_mfma_i32_16x16x32_i8 v[48:51], a[32:33], a[0:1], v[48:51]// 000000006540: D3D70030 1CC20120
	buffer_load_dwordx4 a[96:99], v42, s[24:27], 0 offen       // 000000006548: E05C1000 8086602A
	v_mfma_i32_16x16x32_i8 v[48:51], a[34:35], a[2:3], v[48:51]// 000000006550: D3D70030 1CC20522
	v_mfma_i32_16x16x32_i8 v[48:51], a[36:37], a[4:5], v[48:51]// 000000006558: D3D70030 1CC20924
	v_mfma_i32_16x16x32_i8 v[48:51], a[38:39], a[6:7], v[48:51]// 000000006560: D3D70030 1CC20D26
	v_mfma_i32_16x16x32_i8 v[56:59], a[40:41], a[0:1], v[56:59]// 000000006568: D3D70038 1CE20128
	buffer_load_dwordx4 a[100:103], v42, s[24:27], 0 offen offset:1024// 000000006570: E05C1400 8086642A
	v_mfma_i32_16x16x32_i8 v[56:59], a[42:43], a[2:3], v[56:59]// 000000006578: D3D70038 1CE2052A
	v_mfma_i32_16x16x32_i8 v[56:59], a[44:45], a[4:5], v[56:59]// 000000006580: D3D70038 1CE2092C
	v_mfma_i32_16x16x32_i8 v[56:59], a[46:47], a[6:7], v[56:59]// 000000006588: D3D70038 1CE20D2E
	v_mfma_i32_16x16x32_i8 v[64:67], a[48:49], a[0:1], v[64:67]// 000000006590: D3D70040 1D020130
	buffer_load_dwordx4 a[104:107], v43, s[24:27], 0 offen     // 000000006598: E05C1000 8086682B
	v_mfma_i32_16x16x32_i8 v[64:67], a[50:51], a[2:3], v[64:67]// 0000000065A0: D3D70040 1D020532
	v_mfma_i32_16x16x32_i8 v[64:67], a[52:53], a[4:5], v[64:67]// 0000000065A8: D3D70040 1D020934
	v_mfma_i32_16x16x32_i8 v[64:67], a[54:55], a[6:7], v[64:67]// 0000000065B0: D3D70040 1D020D36
	v_mfma_i32_16x16x32_i8 v[72:75], a[56:57], a[0:1], v[72:75]// 0000000065B8: D3D70048 1D220138
	buffer_load_dwordx4 a[108:111], v43, s[24:27], 0 offen offset:1024// 0000000065C0: E05C1400 80866C2B
	v_mfma_i32_16x16x32_i8 v[72:75], a[58:59], a[2:3], v[72:75]// 0000000065C8: D3D70048 1D22053A
	v_mfma_i32_16x16x32_i8 v[72:75], a[60:61], a[4:5], v[72:75]// 0000000065D0: D3D70048 1D22093C
	v_mfma_i32_16x16x32_i8 v[72:75], a[62:63], a[6:7], v[72:75]// 0000000065D8: D3D70048 1D220D3E
	v_mfma_i32_16x16x32_i8 v[52:55], a[32:33], a[8:9], v[52:55]// 0000000065E0: D3D70034 1CD21120
	buffer_load_dwordx4 a[112:115], v44, s[24:27], 0 offen     // 0000000065E8: E05C1000 8086702C
	v_mfma_i32_16x16x32_i8 v[52:55], a[34:35], a[10:11], v[52:55]// 0000000065F0: D3D70034 1CD21522
	v_mfma_i32_16x16x32_i8 v[52:55], a[36:37], a[12:13], v[52:55]// 0000000065F8: D3D70034 1CD21924
	v_mfma_i32_16x16x32_i8 v[52:55], a[38:39], a[14:15], v[52:55]// 000000006600: D3D70034 1CD21D26
	v_mfma_i32_16x16x32_i8 v[60:63], a[40:41], a[8:9], v[60:63]// 000000006608: D3D7003C 1CF21128
	buffer_load_dwordx4 a[116:119], v44, s[24:27], 0 offen offset:1024// 000000006610: E05C1400 8086742C
	v_mfma_i32_16x16x32_i8 v[60:63], a[42:43], a[10:11], v[60:63]// 000000006618: D3D7003C 1CF2152A
	v_mfma_i32_16x16x32_i8 v[60:63], a[44:45], a[12:13], v[60:63]// 000000006620: D3D7003C 1CF2192C
	v_mfma_i32_16x16x32_i8 v[60:63], a[46:47], a[14:15], v[60:63]// 000000006628: D3D7003C 1CF21D2E
	v_mfma_i32_16x16x32_i8 v[68:71], a[48:49], a[8:9], v[68:71]// 000000006630: D3D70044 1D121130
	buffer_load_dwordx4 a[120:123], v45, s[24:27], 0 offen     // 000000006638: E05C1000 8086782D
	v_mfma_i32_16x16x32_i8 v[68:71], a[50:51], a[10:11], v[68:71]// 000000006640: D3D70044 1D121532
	v_mfma_i32_16x16x32_i8 v[68:71], a[52:53], a[12:13], v[68:71]// 000000006648: D3D70044 1D121934
	v_mfma_i32_16x16x32_i8 v[68:71], a[54:55], a[14:15], v[68:71]// 000000006650: D3D70044 1D121D36
	v_mfma_i32_16x16x32_i8 v[76:79], a[56:57], a[8:9], v[76:79]// 000000006658: D3D7004C 1D321138
	buffer_load_dwordx4 a[124:127], v45, s[24:27], 0 offen offset:1024// 000000006660: E05C1400 80867C2D
	buffer_load_dword v38, s[20:23], 0 offen lds               // 000000006668: E0511000 80050026
	s_add_u32 m0, 0x100, s50                                   // 000000006670: 807C32FF 00000100
	v_mfma_i32_16x16x32_i8 v[76:79], a[58:59], a[10:11], v[76:79]// 000000006678: D3D7004C 1D32153A
	v_mfma_i32_16x16x32_i8 v[76:79], a[60:61], a[12:13], v[76:79]// 000000006680: D3D7004C 1D32193C
	buffer_load_dword v39, s[20:23], 0 offen lds               // 000000006688: E0511000 80050027
	s_add_u32 m0, 0x200, s50                                   // 000000006690: 807C32FF 00000200
	v_mfma_i32_16x16x32_i8 v[76:79], a[62:63], a[14:15], v[76:79]// 000000006698: D3D7004C 1D321D3E
	buffer_load_dword v40, s[20:23], 0 offen lds               // 0000000066A0: E0511000 80050028
	s_add_u32 m0, 0x300, s50                                   // 0000000066A8: 807C32FF 00000300
	buffer_load_dword v41, s[20:23], 0 offen lds               // 0000000066B0: E0511000 80050029
	s_add_u32 m0, 0, s48                                       // 0000000066B8: 807C3080
	s_waitcnt vmcnt(12)                                        // 0000000066BC: BF8C0F7C
	s_barrier                                                  // 0000000066C0: BF8A0000
	v_mfma_i32_16x16x32_i8 v[80:83], a[64:65], a[0:1], v[80:83]// 0000000066C4: D3D70050 1D420140
	buffer_load_dwordx4 a[32:35], v42, s[84:87], 0 offen       // 0000000066CC: E05C1000 8095202A
	v_mfma_i32_16x16x32_i8 v[80:83], a[66:67], a[2:3], v[80:83]// 0000000066D4: D3D70050 1D420542
	v_mfma_i32_16x16x32_i8 v[80:83], a[68:69], a[4:5], v[80:83]// 0000000066DC: D3D70050 1D420944
	ds_read_b128 a[16:19], v2 offset:4224                      // 0000000066E4: DBFE1080 10000002
	ds_read_b128 a[20:23], v2 offset:4288                      // 0000000066EC: DBFE10C0 14000002
	v_mfma_i32_16x16x32_i8 v[80:83], a[70:71], a[6:7], v[80:83]// 0000000066F4: D3D70050 1D420D46
	v_mfma_i32_16x16x32_i8 v[88:91], a[72:73], a[0:1], v[88:91]// 0000000066FC: D3D70058 1D620148
	buffer_load_dwordx4 a[36:39], v42, s[84:87], 0 offen offset:1024// 000000006704: E05C1400 8095242A
	v_mfma_i32_16x16x32_i8 v[88:91], a[74:75], a[2:3], v[88:91]// 00000000670C: D3D70058 1D62054A
	v_mfma_i32_16x16x32_i8 v[88:91], a[76:77], a[4:5], v[88:91]// 000000006714: D3D70058 1D62094C
	ds_read_b128 a[24:27], v2 offset:4736                      // 00000000671C: DBFE1280 18000002
	ds_read_b128 a[28:31], v2 offset:4800                      // 000000006724: DBFE12C0 1C000002
	v_mfma_i32_16x16x32_i8 v[88:91], a[78:79], a[6:7], v[88:91]// 00000000672C: D3D70058 1D620D4E
	v_mfma_i32_16x16x32_i8 v[96:99], a[80:81], a[0:1], v[96:99]// 000000006734: D3D70060 1D820150
	buffer_load_dwordx4 a[40:43], v43, s[84:87], 0 offen       // 00000000673C: E05C1000 8095282B
	v_mfma_i32_16x16x32_i8 v[96:99], a[82:83], a[2:3], v[96:99]// 000000006744: D3D70060 1D820552
	v_mfma_i32_16x16x32_i8 v[96:99], a[84:85], a[4:5], v[96:99]// 00000000674C: D3D70060 1D820954
	v_mfma_i32_16x16x32_i8 v[96:99], a[86:87], a[6:7], v[96:99]// 000000006754: D3D70060 1D820D56
	v_mfma_i32_16x16x32_i8 v[104:107], a[88:89], a[0:1], v[104:107]// 00000000675C: D3D70068 1DA20158
	buffer_load_dwordx4 a[44:47], v43, s[84:87], 0 offen offset:1024// 000000006764: E05C1400 80952C2B
	v_mfma_i32_16x16x32_i8 v[104:107], a[90:91], a[2:3], v[104:107]// 00000000676C: D3D70068 1DA2055A
	v_mfma_i32_16x16x32_i8 v[104:107], a[92:93], a[4:5], v[104:107]// 000000006774: D3D70068 1DA2095C
	v_mfma_i32_16x16x32_i8 v[104:107], a[94:95], a[6:7], v[104:107]// 00000000677C: D3D70068 1DA20D5E
	v_mfma_i32_16x16x32_i8 v[84:87], a[64:65], a[8:9], v[84:87]// 000000006784: D3D70054 1D521140
	buffer_load_dwordx4 a[48:51], v44, s[84:87], 0 offen       // 00000000678C: E05C1000 8095302C
	v_mfma_i32_16x16x32_i8 v[84:87], a[66:67], a[10:11], v[84:87]// 000000006794: D3D70054 1D521542
	v_mfma_i32_16x16x32_i8 v[84:87], a[68:69], a[12:13], v[84:87]// 00000000679C: D3D70054 1D521944
	v_mfma_i32_16x16x32_i8 v[84:87], a[70:71], a[14:15], v[84:87]// 0000000067A4: D3D70054 1D521D46
	v_mfma_i32_16x16x32_i8 v[92:95], a[72:73], a[8:9], v[92:95]// 0000000067AC: D3D7005C 1D721148
	buffer_load_dwordx4 a[52:55], v44, s[84:87], 0 offen offset:1024// 0000000067B4: E05C1400 8095342C
	v_mfma_i32_16x16x32_i8 v[92:95], a[74:75], a[10:11], v[92:95]// 0000000067BC: D3D7005C 1D72154A
	v_mfma_i32_16x16x32_i8 v[92:95], a[76:77], a[12:13], v[92:95]// 0000000067C4: D3D7005C 1D72194C
	v_mfma_i32_16x16x32_i8 v[92:95], a[78:79], a[14:15], v[92:95]// 0000000067CC: D3D7005C 1D721D4E
	v_mfma_i32_16x16x32_i8 v[100:103], a[80:81], a[8:9], v[100:103]// 0000000067D4: D3D70064 1D921150
	buffer_load_dwordx4 a[56:59], v45, s[84:87], 0 offen       // 0000000067DC: E05C1000 8095382D
	s_add_u32 s60, 0x180, s80                                  // 0000000067E4: 803C50FF 00000180
	s_cmp_lt_u32 s60, s81                                      // 0000000067EC: BF0A513C
	s_cselect_b32 s57, s57, 0                                  // 0000000067F0: 85398039
	v_mfma_i32_16x16x32_i8 v[100:103], a[82:83], a[10:11], v[100:103]// 0000000067F4: D3D70064 1D921552
	s_add_u32 s60, 0x100, s80                                  // 0000000067FC: 803C50FF 00000100
	s_cmp_lt_u32 s60, s81                                      // 000000006804: BF0A513C
	s_cselect_b32 s58, s58, 0                                  // 000000006808: 853A803A
	v_mfma_i32_16x16x32_i8 v[100:103], a[84:85], a[12:13], v[100:103]// 00000000680C: D3D70064 1D921954
	s_add_u32 s60, 0x100, s80                                  // 000000006814: 803C50FF 00000100
	s_cmp_lt_u32 s60, s81                                      // 00000000681C: BF0A513C
	s_cselect_b32 s83, s83, 0                                  // 000000006820: 85538053
	v_mfma_i32_16x16x32_i8 v[100:103], a[86:87], a[14:15], v[100:103]// 000000006824: D3D70064 1D921D56
	s_add_u32 s24, s58, s24                                    // 00000000682C: 8018183A
	s_addc_u32 s25, 0, s25                                     // 000000006830: 82191980
	v_mfma_i32_16x16x32_i8 v[108:111], a[88:89], a[8:9], v[108:111]// 000000006834: D3D7006C 1DB21158
	buffer_load_dwordx4 a[60:63], v45, s[84:87], 0 offen offset:1024// 00000000683C: E05C1400 80953C2D
	s_add_u32 s20, s57, s20                                    // 000000006844: 80141439
	s_addc_u32 s21, 0, s21                                     // 000000006848: 82151580
	v_mfma_i32_16x16x32_i8 v[108:111], a[90:91], a[10:11], v[108:111]// 00000000684C: D3D7006C 1DB2155A
	s_add_u32 s84, s83, s84                                    // 000000006854: 80545453
	s_addc_u32 s85, 0, s85                                     // 000000006858: 82555580
	v_mfma_i32_16x16x32_i8 v[108:111], a[92:93], a[12:13], v[108:111]// 00000000685C: D3D7006C 1DB2195C
	v_mfma_i32_16x16x32_i8 v[108:111], a[94:95], a[14:15], v[108:111]// 000000006864: D3D7006C 1DB21D5E
	s_addk_i32 s80, 0x80                                       // 00000000686C: B7500080
	s_cmp_lt_i32 s80, s81                                      // 000000006870: BF045150
	s_cbranch_scc0 label_13AD                                  // 000000006874: BF84040C
	s_waitcnt vmcnt(12) lgkmcnt(0)                             // 000000006878: BF8C007C
	v_mfma_i32_16x16x32_i8 v[48:51], a[96:97], a[16:17], v[48:51]// 00000000687C: D3D70030 1CC22160
	buffer_load_dwordx4 a[64:67], v42, s[24:27], 0 offen       // 000000006884: E05C1000 8086402A
	v_mfma_i32_16x16x32_i8 v[48:51], a[98:99], a[18:19], v[48:51]// 00000000688C: D3D70030 1CC22562
	v_mfma_i32_16x16x32_i8 v[48:51], a[100:101], a[20:21], v[48:51]// 000000006894: D3D70030 1CC22964
	v_mfma_i32_16x16x32_i8 v[48:51], a[102:103], a[22:23], v[48:51]// 00000000689C: D3D70030 1CC22D66
	v_mfma_i32_16x16x32_i8 v[56:59], a[104:105], a[16:17], v[56:59]// 0000000068A4: D3D70038 1CE22168
	buffer_load_dwordx4 a[68:71], v42, s[24:27], 0 offen offset:1024// 0000000068AC: E05C1400 8086442A
	v_mfma_i32_16x16x32_i8 v[56:59], a[106:107], a[18:19], v[56:59]// 0000000068B4: D3D70038 1CE2256A
	v_mfma_i32_16x16x32_i8 v[56:59], a[108:109], a[20:21], v[56:59]// 0000000068BC: D3D70038 1CE2296C
	v_mfma_i32_16x16x32_i8 v[56:59], a[110:111], a[22:23], v[56:59]// 0000000068C4: D3D70038 1CE22D6E
	v_mfma_i32_16x16x32_i8 v[64:67], a[112:113], a[16:17], v[64:67]// 0000000068CC: D3D70040 1D022170
	buffer_load_dwordx4 a[72:75], v43, s[24:27], 0 offen       // 0000000068D4: E05C1000 8086482B
	v_mfma_i32_16x16x32_i8 v[64:67], a[114:115], a[18:19], v[64:67]// 0000000068DC: D3D70040 1D022572
	v_mfma_i32_16x16x32_i8 v[64:67], a[116:117], a[20:21], v[64:67]// 0000000068E4: D3D70040 1D022974
	v_mfma_i32_16x16x32_i8 v[64:67], a[118:119], a[22:23], v[64:67]// 0000000068EC: D3D70040 1D022D76
	v_mfma_i32_16x16x32_i8 v[72:75], a[120:121], a[16:17], v[72:75]// 0000000068F4: D3D70048 1D222178
	buffer_load_dwordx4 a[76:79], v43, s[24:27], 0 offen offset:1024// 0000000068FC: E05C1400 80864C2B
	v_mfma_i32_16x16x32_i8 v[72:75], a[122:123], a[18:19], v[72:75]// 000000006904: D3D70048 1D22257A
	v_mfma_i32_16x16x32_i8 v[72:75], a[124:125], a[20:21], v[72:75]// 00000000690C: D3D70048 1D22297C
	v_mfma_i32_16x16x32_i8 v[72:75], a[126:127], a[22:23], v[72:75]// 000000006914: D3D70048 1D222D7E
	v_mfma_i32_16x16x32_i8 v[52:55], a[96:97], a[24:25], v[52:55]// 00000000691C: D3D70034 1CD23160
	buffer_load_dwordx4 a[80:83], v44, s[24:27], 0 offen       // 000000006924: E05C1000 8086502C
	v_mfma_i32_16x16x32_i8 v[52:55], a[98:99], a[26:27], v[52:55]// 00000000692C: D3D70034 1CD23562
	v_mfma_i32_16x16x32_i8 v[52:55], a[100:101], a[28:29], v[52:55]// 000000006934: D3D70034 1CD23964
	v_mfma_i32_16x16x32_i8 v[52:55], a[102:103], a[30:31], v[52:55]// 00000000693C: D3D70034 1CD23D66
	v_mfma_i32_16x16x32_i8 v[60:63], a[104:105], a[24:25], v[60:63]// 000000006944: D3D7003C 1CF23168
	buffer_load_dwordx4 a[84:87], v44, s[24:27], 0 offen offset:1024// 00000000694C: E05C1400 8086542C
	v_mfma_i32_16x16x32_i8 v[60:63], a[106:107], a[26:27], v[60:63]// 000000006954: D3D7003C 1CF2356A
	v_mfma_i32_16x16x32_i8 v[60:63], a[108:109], a[28:29], v[60:63]// 00000000695C: D3D7003C 1CF2396C
	v_mfma_i32_16x16x32_i8 v[60:63], a[110:111], a[30:31], v[60:63]// 000000006964: D3D7003C 1CF23D6E
	v_mfma_i32_16x16x32_i8 v[68:71], a[112:113], a[24:25], v[68:71]// 00000000696C: D3D70044 1D123170
	buffer_load_dwordx4 a[88:91], v45, s[24:27], 0 offen       // 000000006974: E05C1000 8086582D
	v_mfma_i32_16x16x32_i8 v[68:71], a[114:115], a[26:27], v[68:71]// 00000000697C: D3D70044 1D123572
	v_mfma_i32_16x16x32_i8 v[68:71], a[116:117], a[28:29], v[68:71]// 000000006984: D3D70044 1D123974
	v_mfma_i32_16x16x32_i8 v[68:71], a[118:119], a[30:31], v[68:71]// 00000000698C: D3D70044 1D123D76
	v_mfma_i32_16x16x32_i8 v[76:79], a[120:121], a[24:25], v[76:79]// 000000006994: D3D7004C 1D323178
	buffer_load_dwordx4 a[92:95], v45, s[24:27], 0 offen offset:1024// 00000000699C: E05C1400 80865C2D
	buffer_load_dword v38, s[20:23], 0 offen lds               // 0000000069A4: E0511000 80050026
	s_add_u32 m0, 0x100, s48                                   // 0000000069AC: 807C30FF 00000100
	v_mfma_i32_16x16x32_i8 v[76:79], a[122:123], a[26:27], v[76:79]// 0000000069B4: D3D7004C 1D32357A
	v_mfma_i32_16x16x32_i8 v[76:79], a[124:125], a[28:29], v[76:79]// 0000000069BC: D3D7004C 1D32397C
	buffer_load_dword v39, s[20:23], 0 offen lds               // 0000000069C4: E0511000 80050027
	s_add_u32 m0, 0x200, s48                                   // 0000000069CC: 807C30FF 00000200
	v_mfma_i32_16x16x32_i8 v[76:79], a[126:127], a[30:31], v[76:79]// 0000000069D4: D3D7004C 1D323D7E
	buffer_load_dword v40, s[20:23], 0 offen lds               // 0000000069DC: E0511000 80050028
	s_add_u32 m0, 0x300, s48                                   // 0000000069E4: 807C30FF 00000300
	buffer_load_dword v41, s[20:23], 0 offen lds               // 0000000069EC: E0511000 80050029
	s_add_u32 m0, 0, s49                                       // 0000000069F4: 807C3180
	s_waitcnt vmcnt(12)                                        // 0000000069F8: BF8C0F7C
	s_barrier                                                  // 0000000069FC: BF8A0000
	v_mfma_i32_16x16x32_i8 v[80:83], a[32:33], a[16:17], v[80:83]// 000000006A00: D3D70050 1D422120
	buffer_load_dwordx4 a[96:99], v42, s[84:87], 0 offen       // 000000006A08: E05C1000 8095602A
	v_mfma_i32_16x16x32_i8 v[80:83], a[34:35], a[18:19], v[80:83]// 000000006A10: D3D70050 1D422522
	v_mfma_i32_16x16x32_i8 v[80:83], a[36:37], a[20:21], v[80:83]// 000000006A18: D3D70050 1D422924
	ds_read_b128 a[0:3], v2 offset:8448                        // 000000006A20: DBFE2100 00000002
	ds_read_b128 a[4:7], v2 offset:8512                        // 000000006A28: DBFE2140 04000002
	v_mfma_i32_16x16x32_i8 v[80:83], a[38:39], a[22:23], v[80:83]// 000000006A30: D3D70050 1D422D26
	v_mfma_i32_16x16x32_i8 v[88:91], a[40:41], a[16:17], v[88:91]// 000000006A38: D3D70058 1D622128
	buffer_load_dwordx4 a[100:103], v42, s[84:87], 0 offen offset:1024// 000000006A40: E05C1400 8095642A
	v_mfma_i32_16x16x32_i8 v[88:91], a[42:43], a[18:19], v[88:91]// 000000006A48: D3D70058 1D62252A
	v_mfma_i32_16x16x32_i8 v[88:91], a[44:45], a[20:21], v[88:91]// 000000006A50: D3D70058 1D62292C
	ds_read_b128 a[8:11], v2 offset:8960                       // 000000006A58: DBFE2300 08000002
	ds_read_b128 a[12:15], v2 offset:9024                      // 000000006A60: DBFE2340 0C000002
	v_mfma_i32_16x16x32_i8 v[88:91], a[46:47], a[22:23], v[88:91]// 000000006A68: D3D70058 1D622D2E
	v_mfma_i32_16x16x32_i8 v[96:99], a[48:49], a[16:17], v[96:99]// 000000006A70: D3D70060 1D822130
	buffer_load_dwordx4 a[104:107], v43, s[84:87], 0 offen     // 000000006A78: E05C1000 8095682B
	v_mfma_i32_16x16x32_i8 v[96:99], a[50:51], a[18:19], v[96:99]// 000000006A80: D3D70060 1D822532
	v_mfma_i32_16x16x32_i8 v[96:99], a[52:53], a[20:21], v[96:99]// 000000006A88: D3D70060 1D822934
	v_mfma_i32_16x16x32_i8 v[96:99], a[54:55], a[22:23], v[96:99]// 000000006A90: D3D70060 1D822D36
	v_mfma_i32_16x16x32_i8 v[104:107], a[56:57], a[16:17], v[104:107]// 000000006A98: D3D70068 1DA22138
	buffer_load_dwordx4 a[108:111], v43, s[84:87], 0 offen offset:1024// 000000006AA0: E05C1400 80956C2B
	v_mfma_i32_16x16x32_i8 v[104:107], a[58:59], a[18:19], v[104:107]// 000000006AA8: D3D70068 1DA2253A
	v_mfma_i32_16x16x32_i8 v[104:107], a[60:61], a[20:21], v[104:107]// 000000006AB0: D3D70068 1DA2293C
	v_mfma_i32_16x16x32_i8 v[104:107], a[62:63], a[22:23], v[104:107]// 000000006AB8: D3D70068 1DA22D3E
	v_mfma_i32_16x16x32_i8 v[84:87], a[32:33], a[24:25], v[84:87]// 000000006AC0: D3D70054 1D523120
	buffer_load_dwordx4 a[112:115], v44, s[84:87], 0 offen     // 000000006AC8: E05C1000 8095702C
	v_mfma_i32_16x16x32_i8 v[84:87], a[34:35], a[26:27], v[84:87]// 000000006AD0: D3D70054 1D523522
	v_mfma_i32_16x16x32_i8 v[84:87], a[36:37], a[28:29], v[84:87]// 000000006AD8: D3D70054 1D523924
	v_mfma_i32_16x16x32_i8 v[84:87], a[38:39], a[30:31], v[84:87]// 000000006AE0: D3D70054 1D523D26
	v_mfma_i32_16x16x32_i8 v[92:95], a[40:41], a[24:25], v[92:95]// 000000006AE8: D3D7005C 1D723128
	buffer_load_dwordx4 a[116:119], v44, s[84:87], 0 offen offset:1024// 000000006AF0: E05C1400 8095742C
	v_mfma_i32_16x16x32_i8 v[92:95], a[42:43], a[26:27], v[92:95]// 000000006AF8: D3D7005C 1D72352A
	v_mfma_i32_16x16x32_i8 v[92:95], a[44:45], a[28:29], v[92:95]// 000000006B00: D3D7005C 1D72392C
	v_mfma_i32_16x16x32_i8 v[92:95], a[46:47], a[30:31], v[92:95]// 000000006B08: D3D7005C 1D723D2E
	v_mfma_i32_16x16x32_i8 v[100:103], a[48:49], a[24:25], v[100:103]// 000000006B10: D3D70064 1D923130
	buffer_load_dwordx4 a[120:123], v45, s[84:87], 0 offen     // 000000006B18: E05C1000 8095782D
	s_add_u32 s60, 0x180, s80                                  // 000000006B20: 803C50FF 00000180
	s_cmp_lt_u32 s60, s81                                      // 000000006B28: BF0A513C
	s_cselect_b32 s57, s57, 0                                  // 000000006B2C: 85398039
	v_mfma_i32_16x16x32_i8 v[100:103], a[50:51], a[26:27], v[100:103]// 000000006B30: D3D70064 1D923532
	s_add_u32 s60, 0x100, s80                                  // 000000006B38: 803C50FF 00000100
	s_cmp_lt_u32 s60, s81                                      // 000000006B40: BF0A513C
	s_cselect_b32 s58, s58, 0                                  // 000000006B44: 853A803A
	v_mfma_i32_16x16x32_i8 v[100:103], a[52:53], a[28:29], v[100:103]// 000000006B48: D3D70064 1D923934
	s_add_u32 s60, 0x100, s80                                  // 000000006B50: 803C50FF 00000100
	s_cmp_lt_u32 s60, s81                                      // 000000006B58: BF0A513C
	s_cselect_b32 s83, s83, 0                                  // 000000006B5C: 85538053
	v_mfma_i32_16x16x32_i8 v[100:103], a[54:55], a[30:31], v[100:103]// 000000006B60: D3D70064 1D923D36
	s_add_u32 s24, s58, s24                                    // 000000006B68: 8018183A
	s_addc_u32 s25, 0, s25                                     // 000000006B6C: 82191980
	v_mfma_i32_16x16x32_i8 v[108:111], a[56:57], a[24:25], v[108:111]// 000000006B70: D3D7006C 1DB23138
	buffer_load_dwordx4 a[124:127], v45, s[84:87], 0 offen offset:1024// 000000006B78: E05C1400 80957C2D
	s_add_u32 s20, s57, s20                                    // 000000006B80: 80141439
	s_addc_u32 s21, 0, s21                                     // 000000006B84: 82151580
	v_mfma_i32_16x16x32_i8 v[108:111], a[58:59], a[26:27], v[108:111]// 000000006B88: D3D7006C 1DB2353A
	s_add_u32 s84, s83, s84                                    // 000000006B90: 80545453
	s_addc_u32 s85, 0, s85                                     // 000000006B94: 82555580
	v_mfma_i32_16x16x32_i8 v[108:111], a[60:61], a[28:29], v[108:111]// 000000006B98: D3D7006C 1DB2393C
	v_mfma_i32_16x16x32_i8 v[108:111], a[62:63], a[30:31], v[108:111]// 000000006BA0: D3D7006C 1DB23D3E
	s_addk_i32 s80, 0x80                                       // 000000006BA8: B7500080
	s_cmp_lt_i32 s80, s81                                      // 000000006BAC: BF045150
	s_cbranch_scc0 label_13AD                                  // 000000006BB0: BF84033D
	s_waitcnt vmcnt(12) lgkmcnt(0)                             // 000000006BB4: BF8C007C
	v_mfma_i32_16x16x32_i8 v[48:51], a[64:65], a[0:1], v[48:51]// 000000006BB8: D3D70030 1CC20140
	buffer_load_dwordx4 a[32:35], v42, s[24:27], 0 offen       // 000000006BC0: E05C1000 8086202A
	v_mfma_i32_16x16x32_i8 v[48:51], a[66:67], a[2:3], v[48:51]// 000000006BC8: D3D70030 1CC20542
	v_mfma_i32_16x16x32_i8 v[48:51], a[68:69], a[4:5], v[48:51]// 000000006BD0: D3D70030 1CC20944
	v_mfma_i32_16x16x32_i8 v[48:51], a[70:71], a[6:7], v[48:51]// 000000006BD8: D3D70030 1CC20D46
	v_mfma_i32_16x16x32_i8 v[56:59], a[72:73], a[0:1], v[56:59]// 000000006BE0: D3D70038 1CE20148
	buffer_load_dwordx4 a[36:39], v42, s[24:27], 0 offen offset:1024// 000000006BE8: E05C1400 8086242A
	v_mfma_i32_16x16x32_i8 v[56:59], a[74:75], a[2:3], v[56:59]// 000000006BF0: D3D70038 1CE2054A
	v_mfma_i32_16x16x32_i8 v[56:59], a[76:77], a[4:5], v[56:59]// 000000006BF8: D3D70038 1CE2094C
	v_mfma_i32_16x16x32_i8 v[56:59], a[78:79], a[6:7], v[56:59]// 000000006C00: D3D70038 1CE20D4E
	v_mfma_i32_16x16x32_i8 v[64:67], a[80:81], a[0:1], v[64:67]// 000000006C08: D3D70040 1D020150
	buffer_load_dwordx4 a[40:43], v43, s[24:27], 0 offen       // 000000006C10: E05C1000 8086282B
	v_mfma_i32_16x16x32_i8 v[64:67], a[82:83], a[2:3], v[64:67]// 000000006C18: D3D70040 1D020552
	v_mfma_i32_16x16x32_i8 v[64:67], a[84:85], a[4:5], v[64:67]// 000000006C20: D3D70040 1D020954
	v_mfma_i32_16x16x32_i8 v[64:67], a[86:87], a[6:7], v[64:67]// 000000006C28: D3D70040 1D020D56
	v_mfma_i32_16x16x32_i8 v[72:75], a[88:89], a[0:1], v[72:75]// 000000006C30: D3D70048 1D220158
	buffer_load_dwordx4 a[44:47], v43, s[24:27], 0 offen offset:1024// 000000006C38: E05C1400 80862C2B
	v_mfma_i32_16x16x32_i8 v[72:75], a[90:91], a[2:3], v[72:75]// 000000006C40: D3D70048 1D22055A
	v_mfma_i32_16x16x32_i8 v[72:75], a[92:93], a[4:5], v[72:75]// 000000006C48: D3D70048 1D22095C
	v_mfma_i32_16x16x32_i8 v[72:75], a[94:95], a[6:7], v[72:75]// 000000006C50: D3D70048 1D220D5E
	v_mfma_i32_16x16x32_i8 v[52:55], a[64:65], a[8:9], v[52:55]// 000000006C58: D3D70034 1CD21140
	buffer_load_dwordx4 a[48:51], v44, s[24:27], 0 offen       // 000000006C60: E05C1000 8086302C
	v_mfma_i32_16x16x32_i8 v[52:55], a[66:67], a[10:11], v[52:55]// 000000006C68: D3D70034 1CD21542
	v_mfma_i32_16x16x32_i8 v[52:55], a[68:69], a[12:13], v[52:55]// 000000006C70: D3D70034 1CD21944
	v_mfma_i32_16x16x32_i8 v[52:55], a[70:71], a[14:15], v[52:55]// 000000006C78: D3D70034 1CD21D46
	v_mfma_i32_16x16x32_i8 v[60:63], a[72:73], a[8:9], v[60:63]// 000000006C80: D3D7003C 1CF21148
	buffer_load_dwordx4 a[52:55], v44, s[24:27], 0 offen offset:1024// 000000006C88: E05C1400 8086342C
	v_mfma_i32_16x16x32_i8 v[60:63], a[74:75], a[10:11], v[60:63]// 000000006C90: D3D7003C 1CF2154A
	v_mfma_i32_16x16x32_i8 v[60:63], a[76:77], a[12:13], v[60:63]// 000000006C98: D3D7003C 1CF2194C
	v_mfma_i32_16x16x32_i8 v[60:63], a[78:79], a[14:15], v[60:63]// 000000006CA0: D3D7003C 1CF21D4E
	v_mfma_i32_16x16x32_i8 v[68:71], a[80:81], a[8:9], v[68:71]// 000000006CA8: D3D70044 1D121150
	buffer_load_dwordx4 a[56:59], v45, s[24:27], 0 offen       // 000000006CB0: E05C1000 8086382D
	v_mfma_i32_16x16x32_i8 v[68:71], a[82:83], a[10:11], v[68:71]// 000000006CB8: D3D70044 1D121552
	v_mfma_i32_16x16x32_i8 v[68:71], a[84:85], a[12:13], v[68:71]// 000000006CC0: D3D70044 1D121954
	v_mfma_i32_16x16x32_i8 v[68:71], a[86:87], a[14:15], v[68:71]// 000000006CC8: D3D70044 1D121D56
	v_mfma_i32_16x16x32_i8 v[76:79], a[88:89], a[8:9], v[76:79]// 000000006CD0: D3D7004C 1D321158
	buffer_load_dwordx4 a[60:63], v45, s[24:27], 0 offen offset:1024// 000000006CD8: E05C1400 80863C2D
	buffer_load_dword v38, s[20:23], 0 offen lds               // 000000006CE0: E0511000 80050026
	s_add_u32 m0, 0x100, s49                                   // 000000006CE8: 807C31FF 00000100
	v_mfma_i32_16x16x32_i8 v[76:79], a[90:91], a[10:11], v[76:79]// 000000006CF0: D3D7004C 1D32155A
	v_mfma_i32_16x16x32_i8 v[76:79], a[92:93], a[12:13], v[76:79]// 000000006CF8: D3D7004C 1D32195C
	buffer_load_dword v39, s[20:23], 0 offen lds               // 000000006D00: E0511000 80050027
	s_add_u32 m0, 0x200, s49                                   // 000000006D08: 807C31FF 00000200
	v_mfma_i32_16x16x32_i8 v[76:79], a[94:95], a[14:15], v[76:79]// 000000006D10: D3D7004C 1D321D5E
	buffer_load_dword v40, s[20:23], 0 offen lds               // 000000006D18: E0511000 80050028
	s_add_u32 m0, 0x300, s49                                   // 000000006D20: 807C31FF 00000300
	buffer_load_dword v41, s[20:23], 0 offen lds               // 000000006D28: E0511000 80050029
	s_add_u32 m0, 0, s50                                       // 000000006D30: 807C3280
	s_waitcnt vmcnt(12)                                        // 000000006D34: BF8C0F7C
	s_barrier                                                  // 000000006D38: BF8A0000
	v_mfma_i32_16x16x32_i8 v[80:83], a[96:97], a[0:1], v[80:83]// 000000006D3C: D3D70050 1D420160
	buffer_load_dwordx4 a[64:67], v42, s[84:87], 0 offen       // 000000006D44: E05C1000 8095402A
	v_mfma_i32_16x16x32_i8 v[80:83], a[98:99], a[2:3], v[80:83]// 000000006D4C: D3D70050 1D420562
	v_mfma_i32_16x16x32_i8 v[80:83], a[100:101], a[4:5], v[80:83]// 000000006D54: D3D70050 1D420964
	ds_read_b128 a[16:19], v2                                  // 000000006D5C: DBFE0000 10000002
	ds_read_b128 a[20:23], v2 offset:64                        // 000000006D64: DBFE0040 14000002
	v_mfma_i32_16x16x32_i8 v[80:83], a[102:103], a[6:7], v[80:83]// 000000006D6C: D3D70050 1D420D66
	v_mfma_i32_16x16x32_i8 v[88:91], a[104:105], a[0:1], v[88:91]// 000000006D74: D3D70058 1D620168
	buffer_load_dwordx4 a[68:71], v42, s[84:87], 0 offen offset:1024// 000000006D7C: E05C1400 8095442A
	v_mfma_i32_16x16x32_i8 v[88:91], a[106:107], a[2:3], v[88:91]// 000000006D84: D3D70058 1D62056A
	v_mfma_i32_16x16x32_i8 v[88:91], a[108:109], a[4:5], v[88:91]// 000000006D8C: D3D70058 1D62096C
	ds_read_b128 a[24:27], v2 offset:512                       // 000000006D94: DBFE0200 18000002
	ds_read_b128 a[28:31], v2 offset:576                       // 000000006D9C: DBFE0240 1C000002
	v_mfma_i32_16x16x32_i8 v[88:91], a[110:111], a[6:7], v[88:91]// 000000006DA4: D3D70058 1D620D6E
	v_mfma_i32_16x16x32_i8 v[96:99], a[112:113], a[0:1], v[96:99]// 000000006DAC: D3D70060 1D820170
	buffer_load_dwordx4 a[72:75], v43, s[84:87], 0 offen       // 000000006DB4: E05C1000 8095482B
	v_mfma_i32_16x16x32_i8 v[96:99], a[114:115], a[2:3], v[96:99]// 000000006DBC: D3D70060 1D820572
	v_mfma_i32_16x16x32_i8 v[96:99], a[116:117], a[4:5], v[96:99]// 000000006DC4: D3D70060 1D820974
	v_mfma_i32_16x16x32_i8 v[96:99], a[118:119], a[6:7], v[96:99]// 000000006DCC: D3D70060 1D820D76
	v_mfma_i32_16x16x32_i8 v[104:107], a[120:121], a[0:1], v[104:107]// 000000006DD4: D3D70068 1DA20178
	buffer_load_dwordx4 a[76:79], v43, s[84:87], 0 offen offset:1024// 000000006DDC: E05C1400 80954C2B
	v_mfma_i32_16x16x32_i8 v[104:107], a[122:123], a[2:3], v[104:107]// 000000006DE4: D3D70068 1DA2057A
	v_mfma_i32_16x16x32_i8 v[104:107], a[124:125], a[4:5], v[104:107]// 000000006DEC: D3D70068 1DA2097C
	v_mfma_i32_16x16x32_i8 v[104:107], a[126:127], a[6:7], v[104:107]// 000000006DF4: D3D70068 1DA20D7E
	v_mfma_i32_16x16x32_i8 v[84:87], a[96:97], a[8:9], v[84:87]// 000000006DFC: D3D70054 1D521160
	buffer_load_dwordx4 a[80:83], v44, s[84:87], 0 offen       // 000000006E04: E05C1000 8095502C
	v_mfma_i32_16x16x32_i8 v[84:87], a[98:99], a[10:11], v[84:87]// 000000006E0C: D3D70054 1D521562
	v_mfma_i32_16x16x32_i8 v[84:87], a[100:101], a[12:13], v[84:87]// 000000006E14: D3D70054 1D521964
	v_mfma_i32_16x16x32_i8 v[84:87], a[102:103], a[14:15], v[84:87]// 000000006E1C: D3D70054 1D521D66
	v_mfma_i32_16x16x32_i8 v[92:95], a[104:105], a[8:9], v[92:95]// 000000006E24: D3D7005C 1D721168
	buffer_load_dwordx4 a[84:87], v44, s[84:87], 0 offen offset:1024// 000000006E2C: E05C1400 8095542C
	v_mfma_i32_16x16x32_i8 v[92:95], a[106:107], a[10:11], v[92:95]// 000000006E34: D3D7005C 1D72156A
	v_mfma_i32_16x16x32_i8 v[92:95], a[108:109], a[12:13], v[92:95]// 000000006E3C: D3D7005C 1D72196C
	v_mfma_i32_16x16x32_i8 v[92:95], a[110:111], a[14:15], v[92:95]// 000000006E44: D3D7005C 1D721D6E
	v_mfma_i32_16x16x32_i8 v[100:103], a[112:113], a[8:9], v[100:103]// 000000006E4C: D3D70064 1D921170
	buffer_load_dwordx4 a[88:91], v45, s[84:87], 0 offen       // 000000006E54: E05C1000 8095582D
	s_add_u32 s60, 0x180, s80                                  // 000000006E5C: 803C50FF 00000180
	s_cmp_lt_u32 s60, s81                                      // 000000006E64: BF0A513C
	s_cselect_b32 s57, s57, 0                                  // 000000006E68: 85398039
	v_mfma_i32_16x16x32_i8 v[100:103], a[114:115], a[10:11], v[100:103]// 000000006E6C: D3D70064 1D921572
	s_add_u32 s60, 0x100, s80                                  // 000000006E74: 803C50FF 00000100
	s_cmp_lt_u32 s60, s81                                      // 000000006E7C: BF0A513C
	s_cselect_b32 s58, s58, 0                                  // 000000006E80: 853A803A
	v_mfma_i32_16x16x32_i8 v[100:103], a[116:117], a[12:13], v[100:103]// 000000006E84: D3D70064 1D921974
	s_add_u32 s60, 0x100, s80                                  // 000000006E8C: 803C50FF 00000100
	s_cmp_lt_u32 s60, s81                                      // 000000006E94: BF0A513C
	s_cselect_b32 s83, s83, 0                                  // 000000006E98: 85538053
	v_mfma_i32_16x16x32_i8 v[100:103], a[118:119], a[14:15], v[100:103]// 000000006E9C: D3D70064 1D921D76
	s_add_u32 s24, s58, s24                                    // 000000006EA4: 8018183A
	s_addc_u32 s25, 0, s25                                     // 000000006EA8: 82191980
	v_mfma_i32_16x16x32_i8 v[108:111], a[120:121], a[8:9], v[108:111]// 000000006EAC: D3D7006C 1DB21178
	buffer_load_dwordx4 a[92:95], v45, s[84:87], 0 offen offset:1024// 000000006EB4: E05C1400 80955C2D
	s_add_u32 s20, s57, s20                                    // 000000006EBC: 80141439
	s_addc_u32 s21, 0, s21                                     // 000000006EC0: 82151580
	v_mfma_i32_16x16x32_i8 v[108:111], a[122:123], a[10:11], v[108:111]// 000000006EC4: D3D7006C 1DB2157A
	s_add_u32 s84, s83, s84                                    // 000000006ECC: 80545453
	s_addc_u32 s85, 0, s85                                     // 000000006ED0: 82555580
	v_mfma_i32_16x16x32_i8 v[108:111], a[124:125], a[12:13], v[108:111]// 000000006ED4: D3D7006C 1DB2197C
	v_mfma_i32_16x16x32_i8 v[108:111], a[126:127], a[14:15], v[108:111]// 000000006EDC: D3D7006C 1DB21D7E
	s_addk_i32 s80, 0x80                                       // 000000006EE4: B7500080
	s_cmp_lt_i32 s80, s81                                      // 000000006EE8: BF045150
	s_cbranch_scc0 label_13AD                                  // 000000006EEC: BF84026E
	s_waitcnt vmcnt(12) lgkmcnt(0)                             // 000000006EF0: BF8C007C
	v_mfma_i32_16x16x32_i8 v[48:51], a[32:33], a[16:17], v[48:51]// 000000006EF4: D3D70030 1CC22120
	buffer_load_dwordx4 a[96:99], v42, s[24:27], 0 offen       // 000000006EFC: E05C1000 8086602A
	v_mfma_i32_16x16x32_i8 v[48:51], a[34:35], a[18:19], v[48:51]// 000000006F04: D3D70030 1CC22522
	v_mfma_i32_16x16x32_i8 v[48:51], a[36:37], a[20:21], v[48:51]// 000000006F0C: D3D70030 1CC22924
	v_mfma_i32_16x16x32_i8 v[48:51], a[38:39], a[22:23], v[48:51]// 000000006F14: D3D70030 1CC22D26
	v_mfma_i32_16x16x32_i8 v[56:59], a[40:41], a[16:17], v[56:59]// 000000006F1C: D3D70038 1CE22128
	buffer_load_dwordx4 a[100:103], v42, s[24:27], 0 offen offset:1024// 000000006F24: E05C1400 8086642A
	v_mfma_i32_16x16x32_i8 v[56:59], a[42:43], a[18:19], v[56:59]// 000000006F2C: D3D70038 1CE2252A
	v_mfma_i32_16x16x32_i8 v[56:59], a[44:45], a[20:21], v[56:59]// 000000006F34: D3D70038 1CE2292C
	v_mfma_i32_16x16x32_i8 v[56:59], a[46:47], a[22:23], v[56:59]// 000000006F3C: D3D70038 1CE22D2E
	v_mfma_i32_16x16x32_i8 v[64:67], a[48:49], a[16:17], v[64:67]// 000000006F44: D3D70040 1D022130
	buffer_load_dwordx4 a[104:107], v43, s[24:27], 0 offen     // 000000006F4C: E05C1000 8086682B
	v_mfma_i32_16x16x32_i8 v[64:67], a[50:51], a[18:19], v[64:67]// 000000006F54: D3D70040 1D022532
	v_mfma_i32_16x16x32_i8 v[64:67], a[52:53], a[20:21], v[64:67]// 000000006F5C: D3D70040 1D022934
	v_mfma_i32_16x16x32_i8 v[64:67], a[54:55], a[22:23], v[64:67]// 000000006F64: D3D70040 1D022D36
	v_mfma_i32_16x16x32_i8 v[72:75], a[56:57], a[16:17], v[72:75]// 000000006F6C: D3D70048 1D222138
	buffer_load_dwordx4 a[108:111], v43, s[24:27], 0 offen offset:1024// 000000006F74: E05C1400 80866C2B
	v_mfma_i32_16x16x32_i8 v[72:75], a[58:59], a[18:19], v[72:75]// 000000006F7C: D3D70048 1D22253A
	v_mfma_i32_16x16x32_i8 v[72:75], a[60:61], a[20:21], v[72:75]// 000000006F84: D3D70048 1D22293C
	v_mfma_i32_16x16x32_i8 v[72:75], a[62:63], a[22:23], v[72:75]// 000000006F8C: D3D70048 1D222D3E
	v_mfma_i32_16x16x32_i8 v[52:55], a[32:33], a[24:25], v[52:55]// 000000006F94: D3D70034 1CD23120
	buffer_load_dwordx4 a[112:115], v44, s[24:27], 0 offen     // 000000006F9C: E05C1000 8086702C
	v_mfma_i32_16x16x32_i8 v[52:55], a[34:35], a[26:27], v[52:55]// 000000006FA4: D3D70034 1CD23522
	v_mfma_i32_16x16x32_i8 v[52:55], a[36:37], a[28:29], v[52:55]// 000000006FAC: D3D70034 1CD23924
	v_mfma_i32_16x16x32_i8 v[52:55], a[38:39], a[30:31], v[52:55]// 000000006FB4: D3D70034 1CD23D26
	v_mfma_i32_16x16x32_i8 v[60:63], a[40:41], a[24:25], v[60:63]// 000000006FBC: D3D7003C 1CF23128
	buffer_load_dwordx4 a[116:119], v44, s[24:27], 0 offen offset:1024// 000000006FC4: E05C1400 8086742C
	v_mfma_i32_16x16x32_i8 v[60:63], a[42:43], a[26:27], v[60:63]// 000000006FCC: D3D7003C 1CF2352A
	v_mfma_i32_16x16x32_i8 v[60:63], a[44:45], a[28:29], v[60:63]// 000000006FD4: D3D7003C 1CF2392C
	v_mfma_i32_16x16x32_i8 v[60:63], a[46:47], a[30:31], v[60:63]// 000000006FDC: D3D7003C 1CF23D2E
	v_mfma_i32_16x16x32_i8 v[68:71], a[48:49], a[24:25], v[68:71]// 000000006FE4: D3D70044 1D123130
	buffer_load_dwordx4 a[120:123], v45, s[24:27], 0 offen     // 000000006FEC: E05C1000 8086782D
	v_mfma_i32_16x16x32_i8 v[68:71], a[50:51], a[26:27], v[68:71]// 000000006FF4: D3D70044 1D123532
	v_mfma_i32_16x16x32_i8 v[68:71], a[52:53], a[28:29], v[68:71]// 000000006FFC: D3D70044 1D123934
	v_mfma_i32_16x16x32_i8 v[68:71], a[54:55], a[30:31], v[68:71]// 000000007004: D3D70044 1D123D36
	v_mfma_i32_16x16x32_i8 v[76:79], a[56:57], a[24:25], v[76:79]// 00000000700C: D3D7004C 1D323138
	buffer_load_dwordx4 a[124:127], v45, s[24:27], 0 offen offset:1024// 000000007014: E05C1400 80867C2D
	buffer_load_dword v38, s[20:23], 0 offen lds               // 00000000701C: E0511000 80050026
	s_add_u32 m0, 0x100, s50                                   // 000000007024: 807C32FF 00000100
	v_mfma_i32_16x16x32_i8 v[76:79], a[58:59], a[26:27], v[76:79]// 00000000702C: D3D7004C 1D32353A
	v_mfma_i32_16x16x32_i8 v[76:79], a[60:61], a[28:29], v[76:79]// 000000007034: D3D7004C 1D32393C
	buffer_load_dword v39, s[20:23], 0 offen lds               // 00000000703C: E0511000 80050027
	s_add_u32 m0, 0x200, s50                                   // 000000007044: 807C32FF 00000200
	v_mfma_i32_16x16x32_i8 v[76:79], a[62:63], a[30:31], v[76:79]// 00000000704C: D3D7004C 1D323D3E
	buffer_load_dword v40, s[20:23], 0 offen lds               // 000000007054: E0511000 80050028
	s_add_u32 m0, 0x300, s50                                   // 00000000705C: 807C32FF 00000300
	buffer_load_dword v41, s[20:23], 0 offen lds               // 000000007064: E0511000 80050029
	s_add_u32 m0, 0, s48                                       // 00000000706C: 807C3080
	s_waitcnt vmcnt(12)                                        // 000000007070: BF8C0F7C
	s_barrier                                                  // 000000007074: BF8A0000
	v_mfma_i32_16x16x32_i8 v[80:83], a[64:65], a[16:17], v[80:83]// 000000007078: D3D70050 1D422140
	buffer_load_dwordx4 a[32:35], v42, s[84:87], 0 offen       // 000000007080: E05C1000 8095202A
	v_mfma_i32_16x16x32_i8 v[80:83], a[66:67], a[18:19], v[80:83]// 000000007088: D3D70050 1D422542
	v_mfma_i32_16x16x32_i8 v[80:83], a[68:69], a[20:21], v[80:83]// 000000007090: D3D70050 1D422944
	ds_read_b128 a[0:3], v2 offset:4224                        // 000000007098: DBFE1080 00000002
	ds_read_b128 a[4:7], v2 offset:4288                        // 0000000070A0: DBFE10C0 04000002
	v_mfma_i32_16x16x32_i8 v[80:83], a[70:71], a[22:23], v[80:83]// 0000000070A8: D3D70050 1D422D46
	v_mfma_i32_16x16x32_i8 v[88:91], a[72:73], a[16:17], v[88:91]// 0000000070B0: D3D70058 1D622148
	buffer_load_dwordx4 a[36:39], v42, s[84:87], 0 offen offset:1024// 0000000070B8: E05C1400 8095242A
	v_mfma_i32_16x16x32_i8 v[88:91], a[74:75], a[18:19], v[88:91]// 0000000070C0: D3D70058 1D62254A
	v_mfma_i32_16x16x32_i8 v[88:91], a[76:77], a[20:21], v[88:91]// 0000000070C8: D3D70058 1D62294C
	ds_read_b128 a[8:11], v2 offset:4736                       // 0000000070D0: DBFE1280 08000002
	ds_read_b128 a[12:15], v2 offset:4800                      // 0000000070D8: DBFE12C0 0C000002
	v_mfma_i32_16x16x32_i8 v[88:91], a[78:79], a[22:23], v[88:91]// 0000000070E0: D3D70058 1D622D4E
	v_mfma_i32_16x16x32_i8 v[96:99], a[80:81], a[16:17], v[96:99]// 0000000070E8: D3D70060 1D822150
	buffer_load_dwordx4 a[40:43], v43, s[84:87], 0 offen       // 0000000070F0: E05C1000 8095282B
	v_mfma_i32_16x16x32_i8 v[96:99], a[82:83], a[18:19], v[96:99]// 0000000070F8: D3D70060 1D822552
	v_mfma_i32_16x16x32_i8 v[96:99], a[84:85], a[20:21], v[96:99]// 000000007100: D3D70060 1D822954
	v_mfma_i32_16x16x32_i8 v[96:99], a[86:87], a[22:23], v[96:99]// 000000007108: D3D70060 1D822D56
	v_mfma_i32_16x16x32_i8 v[104:107], a[88:89], a[16:17], v[104:107]// 000000007110: D3D70068 1DA22158
	buffer_load_dwordx4 a[44:47], v43, s[84:87], 0 offen offset:1024// 000000007118: E05C1400 80952C2B
	v_mfma_i32_16x16x32_i8 v[104:107], a[90:91], a[18:19], v[104:107]// 000000007120: D3D70068 1DA2255A
	v_mfma_i32_16x16x32_i8 v[104:107], a[92:93], a[20:21], v[104:107]// 000000007128: D3D70068 1DA2295C
	v_mfma_i32_16x16x32_i8 v[104:107], a[94:95], a[22:23], v[104:107]// 000000007130: D3D70068 1DA22D5E
	v_mfma_i32_16x16x32_i8 v[84:87], a[64:65], a[24:25], v[84:87]// 000000007138: D3D70054 1D523140
	buffer_load_dwordx4 a[48:51], v44, s[84:87], 0 offen       // 000000007140: E05C1000 8095302C
	v_mfma_i32_16x16x32_i8 v[84:87], a[66:67], a[26:27], v[84:87]// 000000007148: D3D70054 1D523542
	v_mfma_i32_16x16x32_i8 v[84:87], a[68:69], a[28:29], v[84:87]// 000000007150: D3D70054 1D523944
	v_mfma_i32_16x16x32_i8 v[84:87], a[70:71], a[30:31], v[84:87]// 000000007158: D3D70054 1D523D46
	v_mfma_i32_16x16x32_i8 v[92:95], a[72:73], a[24:25], v[92:95]// 000000007160: D3D7005C 1D723148
	buffer_load_dwordx4 a[52:55], v44, s[84:87], 0 offen offset:1024// 000000007168: E05C1400 8095342C
	v_mfma_i32_16x16x32_i8 v[92:95], a[74:75], a[26:27], v[92:95]// 000000007170: D3D7005C 1D72354A
	v_mfma_i32_16x16x32_i8 v[92:95], a[76:77], a[28:29], v[92:95]// 000000007178: D3D7005C 1D72394C
	v_mfma_i32_16x16x32_i8 v[92:95], a[78:79], a[30:31], v[92:95]// 000000007180: D3D7005C 1D723D4E
	v_mfma_i32_16x16x32_i8 v[100:103], a[80:81], a[24:25], v[100:103]// 000000007188: D3D70064 1D923150
	buffer_load_dwordx4 a[56:59], v45, s[84:87], 0 offen       // 000000007190: E05C1000 8095382D
	s_add_u32 s60, 0x180, s80                                  // 000000007198: 803C50FF 00000180
	s_cmp_lt_u32 s60, s81                                      // 0000000071A0: BF0A513C
	s_cselect_b32 s57, s57, 0                                  // 0000000071A4: 85398039
	v_mfma_i32_16x16x32_i8 v[100:103], a[82:83], a[26:27], v[100:103]// 0000000071A8: D3D70064 1D923552
	s_add_u32 s60, 0x100, s80                                  // 0000000071B0: 803C50FF 00000100
	s_cmp_lt_u32 s60, s81                                      // 0000000071B8: BF0A513C
	s_cselect_b32 s58, s58, 0                                  // 0000000071BC: 853A803A
	v_mfma_i32_16x16x32_i8 v[100:103], a[84:85], a[28:29], v[100:103]// 0000000071C0: D3D70064 1D923954
	s_add_u32 s60, 0x100, s80                                  // 0000000071C8: 803C50FF 00000100
	s_cmp_lt_u32 s60, s81                                      // 0000000071D0: BF0A513C
	s_cselect_b32 s83, s83, 0                                  // 0000000071D4: 85538053
	v_mfma_i32_16x16x32_i8 v[100:103], a[86:87], a[30:31], v[100:103]// 0000000071D8: D3D70064 1D923D56
	s_add_u32 s24, s58, s24                                    // 0000000071E0: 8018183A
	s_addc_u32 s25, 0, s25                                     // 0000000071E4: 82191980
	v_mfma_i32_16x16x32_i8 v[108:111], a[88:89], a[24:25], v[108:111]// 0000000071E8: D3D7006C 1DB23158
	buffer_load_dwordx4 a[60:63], v45, s[84:87], 0 offen offset:1024// 0000000071F0: E05C1400 80953C2D
	s_add_u32 s20, s57, s20                                    // 0000000071F8: 80141439
	s_addc_u32 s21, 0, s21                                     // 0000000071FC: 82151580
	v_mfma_i32_16x16x32_i8 v[108:111], a[90:91], a[26:27], v[108:111]// 000000007200: D3D7006C 1DB2355A
	s_add_u32 s84, s83, s84                                    // 000000007208: 80545453
	s_addc_u32 s85, 0, s85                                     // 00000000720C: 82555580
	v_mfma_i32_16x16x32_i8 v[108:111], a[92:93], a[28:29], v[108:111]// 000000007210: D3D7006C 1DB2395C
	v_mfma_i32_16x16x32_i8 v[108:111], a[94:95], a[30:31], v[108:111]// 000000007218: D3D7006C 1DB23D5E
	s_addk_i32 s80, 0x80                                       // 000000007220: B7500080
	s_cmp_lt_i32 s80, s81                                      // 000000007224: BF045150
	s_cbranch_scc0 label_13AD                                  // 000000007228: BF84019F
	s_waitcnt vmcnt(12) lgkmcnt(0)                             // 00000000722C: BF8C007C
	v_mfma_i32_16x16x32_i8 v[48:51], a[96:97], a[0:1], v[48:51]// 000000007230: D3D70030 1CC20160
	buffer_load_dwordx4 a[64:67], v42, s[24:27], 0 offen       // 000000007238: E05C1000 8086402A
	v_mfma_i32_16x16x32_i8 v[48:51], a[98:99], a[2:3], v[48:51]// 000000007240: D3D70030 1CC20562
	v_mfma_i32_16x16x32_i8 v[48:51], a[100:101], a[4:5], v[48:51]// 000000007248: D3D70030 1CC20964
	v_mfma_i32_16x16x32_i8 v[48:51], a[102:103], a[6:7], v[48:51]// 000000007250: D3D70030 1CC20D66
	v_mfma_i32_16x16x32_i8 v[56:59], a[104:105], a[0:1], v[56:59]// 000000007258: D3D70038 1CE20168
	buffer_load_dwordx4 a[68:71], v42, s[24:27], 0 offen offset:1024// 000000007260: E05C1400 8086442A
	v_mfma_i32_16x16x32_i8 v[56:59], a[106:107], a[2:3], v[56:59]// 000000007268: D3D70038 1CE2056A
	v_mfma_i32_16x16x32_i8 v[56:59], a[108:109], a[4:5], v[56:59]// 000000007270: D3D70038 1CE2096C
	v_mfma_i32_16x16x32_i8 v[56:59], a[110:111], a[6:7], v[56:59]// 000000007278: D3D70038 1CE20D6E
	v_mfma_i32_16x16x32_i8 v[64:67], a[112:113], a[0:1], v[64:67]// 000000007280: D3D70040 1D020170
	buffer_load_dwordx4 a[72:75], v43, s[24:27], 0 offen       // 000000007288: E05C1000 8086482B
	v_mfma_i32_16x16x32_i8 v[64:67], a[114:115], a[2:3], v[64:67]// 000000007290: D3D70040 1D020572
	v_mfma_i32_16x16x32_i8 v[64:67], a[116:117], a[4:5], v[64:67]// 000000007298: D3D70040 1D020974
	v_mfma_i32_16x16x32_i8 v[64:67], a[118:119], a[6:7], v[64:67]// 0000000072A0: D3D70040 1D020D76
	v_mfma_i32_16x16x32_i8 v[72:75], a[120:121], a[0:1], v[72:75]// 0000000072A8: D3D70048 1D220178
	buffer_load_dwordx4 a[76:79], v43, s[24:27], 0 offen offset:1024// 0000000072B0: E05C1400 80864C2B
	v_mfma_i32_16x16x32_i8 v[72:75], a[122:123], a[2:3], v[72:75]// 0000000072B8: D3D70048 1D22057A
	v_mfma_i32_16x16x32_i8 v[72:75], a[124:125], a[4:5], v[72:75]// 0000000072C0: D3D70048 1D22097C
	v_mfma_i32_16x16x32_i8 v[72:75], a[126:127], a[6:7], v[72:75]// 0000000072C8: D3D70048 1D220D7E
	v_mfma_i32_16x16x32_i8 v[52:55], a[96:97], a[8:9], v[52:55]// 0000000072D0: D3D70034 1CD21160
	buffer_load_dwordx4 a[80:83], v44, s[24:27], 0 offen       // 0000000072D8: E05C1000 8086502C
	v_mfma_i32_16x16x32_i8 v[52:55], a[98:99], a[10:11], v[52:55]// 0000000072E0: D3D70034 1CD21562
	v_mfma_i32_16x16x32_i8 v[52:55], a[100:101], a[12:13], v[52:55]// 0000000072E8: D3D70034 1CD21964
	v_mfma_i32_16x16x32_i8 v[52:55], a[102:103], a[14:15], v[52:55]// 0000000072F0: D3D70034 1CD21D66
	v_mfma_i32_16x16x32_i8 v[60:63], a[104:105], a[8:9], v[60:63]// 0000000072F8: D3D7003C 1CF21168
	buffer_load_dwordx4 a[84:87], v44, s[24:27], 0 offen offset:1024// 000000007300: E05C1400 8086542C
	v_mfma_i32_16x16x32_i8 v[60:63], a[106:107], a[10:11], v[60:63]// 000000007308: D3D7003C 1CF2156A
	v_mfma_i32_16x16x32_i8 v[60:63], a[108:109], a[12:13], v[60:63]// 000000007310: D3D7003C 1CF2196C
	v_mfma_i32_16x16x32_i8 v[60:63], a[110:111], a[14:15], v[60:63]// 000000007318: D3D7003C 1CF21D6E
	v_mfma_i32_16x16x32_i8 v[68:71], a[112:113], a[8:9], v[68:71]// 000000007320: D3D70044 1D121170
	buffer_load_dwordx4 a[88:91], v45, s[24:27], 0 offen       // 000000007328: E05C1000 8086582D
	v_mfma_i32_16x16x32_i8 v[68:71], a[114:115], a[10:11], v[68:71]// 000000007330: D3D70044 1D121572
	v_mfma_i32_16x16x32_i8 v[68:71], a[116:117], a[12:13], v[68:71]// 000000007338: D3D70044 1D121974
	v_mfma_i32_16x16x32_i8 v[68:71], a[118:119], a[14:15], v[68:71]// 000000007340: D3D70044 1D121D76
	v_mfma_i32_16x16x32_i8 v[76:79], a[120:121], a[8:9], v[76:79]// 000000007348: D3D7004C 1D321178
	buffer_load_dwordx4 a[92:95], v45, s[24:27], 0 offen offset:1024// 000000007350: E05C1400 80865C2D
	buffer_load_dword v38, s[20:23], 0 offen lds               // 000000007358: E0511000 80050026
	s_add_u32 m0, 0x100, s48                                   // 000000007360: 807C30FF 00000100
	v_mfma_i32_16x16x32_i8 v[76:79], a[122:123], a[10:11], v[76:79]// 000000007368: D3D7004C 1D32157A
	v_mfma_i32_16x16x32_i8 v[76:79], a[124:125], a[12:13], v[76:79]// 000000007370: D3D7004C 1D32197C
	buffer_load_dword v39, s[20:23], 0 offen lds               // 000000007378: E0511000 80050027
	s_add_u32 m0, 0x200, s48                                   // 000000007380: 807C30FF 00000200
	v_mfma_i32_16x16x32_i8 v[76:79], a[126:127], a[14:15], v[76:79]// 000000007388: D3D7004C 1D321D7E
	buffer_load_dword v40, s[20:23], 0 offen lds               // 000000007390: E0511000 80050028
	s_add_u32 m0, 0x300, s48                                   // 000000007398: 807C30FF 00000300
	buffer_load_dword v41, s[20:23], 0 offen lds               // 0000000073A0: E0511000 80050029
	s_add_u32 m0, 0, s49                                       // 0000000073A8: 807C3180
	s_waitcnt vmcnt(12)                                        // 0000000073AC: BF8C0F7C
	s_barrier                                                  // 0000000073B0: BF8A0000
	v_mfma_i32_16x16x32_i8 v[80:83], a[32:33], a[0:1], v[80:83]// 0000000073B4: D3D70050 1D420120
	buffer_load_dwordx4 a[96:99], v42, s[84:87], 0 offen       // 0000000073BC: E05C1000 8095602A
	v_mfma_i32_16x16x32_i8 v[80:83], a[34:35], a[2:3], v[80:83]// 0000000073C4: D3D70050 1D420522
	v_mfma_i32_16x16x32_i8 v[80:83], a[36:37], a[4:5], v[80:83]// 0000000073CC: D3D70050 1D420924
	ds_read_b128 a[16:19], v2 offset:8448                      // 0000000073D4: DBFE2100 10000002
	ds_read_b128 a[20:23], v2 offset:8512                      // 0000000073DC: DBFE2140 14000002
	v_mfma_i32_16x16x32_i8 v[80:83], a[38:39], a[6:7], v[80:83]// 0000000073E4: D3D70050 1D420D26
	v_mfma_i32_16x16x32_i8 v[88:91], a[40:41], a[0:1], v[88:91]// 0000000073EC: D3D70058 1D620128
	buffer_load_dwordx4 a[100:103], v42, s[84:87], 0 offen offset:1024// 0000000073F4: E05C1400 8095642A
	v_mfma_i32_16x16x32_i8 v[88:91], a[42:43], a[2:3], v[88:91]// 0000000073FC: D3D70058 1D62052A
	v_mfma_i32_16x16x32_i8 v[88:91], a[44:45], a[4:5], v[88:91]// 000000007404: D3D70058 1D62092C
	ds_read_b128 a[24:27], v2 offset:8960                      // 00000000740C: DBFE2300 18000002
	ds_read_b128 a[28:31], v2 offset:9024                      // 000000007414: DBFE2340 1C000002
	v_mfma_i32_16x16x32_i8 v[88:91], a[46:47], a[6:7], v[88:91]// 00000000741C: D3D70058 1D620D2E
	v_mfma_i32_16x16x32_i8 v[96:99], a[48:49], a[0:1], v[96:99]// 000000007424: D3D70060 1D820130
	buffer_load_dwordx4 a[104:107], v43, s[84:87], 0 offen     // 00000000742C: E05C1000 8095682B
	v_mfma_i32_16x16x32_i8 v[96:99], a[50:51], a[2:3], v[96:99]// 000000007434: D3D70060 1D820532
	v_mfma_i32_16x16x32_i8 v[96:99], a[52:53], a[4:5], v[96:99]// 00000000743C: D3D70060 1D820934
	v_mfma_i32_16x16x32_i8 v[96:99], a[54:55], a[6:7], v[96:99]// 000000007444: D3D70060 1D820D36
	v_mfma_i32_16x16x32_i8 v[104:107], a[56:57], a[0:1], v[104:107]// 00000000744C: D3D70068 1DA20138
	buffer_load_dwordx4 a[108:111], v43, s[84:87], 0 offen offset:1024// 000000007454: E05C1400 80956C2B
	v_mfma_i32_16x16x32_i8 v[104:107], a[58:59], a[2:3], v[104:107]// 00000000745C: D3D70068 1DA2053A
	v_mfma_i32_16x16x32_i8 v[104:107], a[60:61], a[4:5], v[104:107]// 000000007464: D3D70068 1DA2093C
	v_mfma_i32_16x16x32_i8 v[104:107], a[62:63], a[6:7], v[104:107]// 00000000746C: D3D70068 1DA20D3E
	v_mfma_i32_16x16x32_i8 v[84:87], a[32:33], a[8:9], v[84:87]// 000000007474: D3D70054 1D521120
	buffer_load_dwordx4 a[112:115], v44, s[84:87], 0 offen     // 00000000747C: E05C1000 8095702C
	v_mfma_i32_16x16x32_i8 v[84:87], a[34:35], a[10:11], v[84:87]// 000000007484: D3D70054 1D521522
	v_mfma_i32_16x16x32_i8 v[84:87], a[36:37], a[12:13], v[84:87]// 00000000748C: D3D70054 1D521924
	v_mfma_i32_16x16x32_i8 v[84:87], a[38:39], a[14:15], v[84:87]// 000000007494: D3D70054 1D521D26
	v_mfma_i32_16x16x32_i8 v[92:95], a[40:41], a[8:9], v[92:95]// 00000000749C: D3D7005C 1D721128
	buffer_load_dwordx4 a[116:119], v44, s[84:87], 0 offen offset:1024// 0000000074A4: E05C1400 8095742C
	v_mfma_i32_16x16x32_i8 v[92:95], a[42:43], a[10:11], v[92:95]// 0000000074AC: D3D7005C 1D72152A
	v_mfma_i32_16x16x32_i8 v[92:95], a[44:45], a[12:13], v[92:95]// 0000000074B4: D3D7005C 1D72192C
	v_mfma_i32_16x16x32_i8 v[92:95], a[46:47], a[14:15], v[92:95]// 0000000074BC: D3D7005C 1D721D2E
	v_mfma_i32_16x16x32_i8 v[100:103], a[48:49], a[8:9], v[100:103]// 0000000074C4: D3D70064 1D921130
	buffer_load_dwordx4 a[120:123], v45, s[84:87], 0 offen     // 0000000074CC: E05C1000 8095782D
	s_add_u32 s60, 0x180, s80                                  // 0000000074D4: 803C50FF 00000180
	s_cmp_lt_u32 s60, s81                                      // 0000000074DC: BF0A513C
	s_cselect_b32 s57, s57, 0                                  // 0000000074E0: 85398039
	v_mfma_i32_16x16x32_i8 v[100:103], a[50:51], a[10:11], v[100:103]// 0000000074E4: D3D70064 1D921532
	s_add_u32 s60, 0x100, s80                                  // 0000000074EC: 803C50FF 00000100
	s_cmp_lt_u32 s60, s81                                      // 0000000074F4: BF0A513C
	s_cselect_b32 s58, s58, 0                                  // 0000000074F8: 853A803A
	v_mfma_i32_16x16x32_i8 v[100:103], a[52:53], a[12:13], v[100:103]// 0000000074FC: D3D70064 1D921934
	s_add_u32 s60, 0x100, s80                                  // 000000007504: 803C50FF 00000100
	s_cmp_lt_u32 s60, s81                                      // 00000000750C: BF0A513C
	s_cselect_b32 s83, s83, 0                                  // 000000007510: 85538053
	v_mfma_i32_16x16x32_i8 v[100:103], a[54:55], a[14:15], v[100:103]// 000000007514: D3D70064 1D921D36
	s_add_u32 s24, s58, s24                                    // 00000000751C: 8018183A
	s_addc_u32 s25, 0, s25                                     // 000000007520: 82191980
	v_mfma_i32_16x16x32_i8 v[108:111], a[56:57], a[8:9], v[108:111]// 000000007524: D3D7006C 1DB21138
	buffer_load_dwordx4 a[124:127], v45, s[84:87], 0 offen offset:1024// 00000000752C: E05C1400 80957C2D
	s_add_u32 s20, s57, s20                                    // 000000007534: 80141439
	s_addc_u32 s21, 0, s21                                     // 000000007538: 82151580
	v_mfma_i32_16x16x32_i8 v[108:111], a[58:59], a[10:11], v[108:111]// 00000000753C: D3D7006C 1DB2153A
	s_add_u32 s84, s83, s84                                    // 000000007544: 80545453
	s_addc_u32 s85, 0, s85                                     // 000000007548: 82555580
	v_mfma_i32_16x16x32_i8 v[108:111], a[60:61], a[12:13], v[108:111]// 00000000754C: D3D7006C 1DB2193C
	v_mfma_i32_16x16x32_i8 v[108:111], a[62:63], a[14:15], v[108:111]// 000000007554: D3D7006C 1DB21D3E
	s_addk_i32 s80, 0x80                                       // 00000000755C: B7500080
	s_cmp_lt_i32 s80, s81                                      // 000000007560: BF045150
	s_cbranch_scc0 label_13AD                                  // 000000007564: BF8400D0
	s_waitcnt vmcnt(12) lgkmcnt(0)                             // 000000007568: BF8C007C
	v_mfma_i32_16x16x32_i8 v[48:51], a[64:65], a[16:17], v[48:51]// 00000000756C: D3D70030 1CC22140
	buffer_load_dwordx4 a[32:35], v42, s[24:27], 0 offen       // 000000007574: E05C1000 8086202A
	v_mfma_i32_16x16x32_i8 v[48:51], a[66:67], a[18:19], v[48:51]// 00000000757C: D3D70030 1CC22542
	v_mfma_i32_16x16x32_i8 v[48:51], a[68:69], a[20:21], v[48:51]// 000000007584: D3D70030 1CC22944
	v_mfma_i32_16x16x32_i8 v[48:51], a[70:71], a[22:23], v[48:51]// 00000000758C: D3D70030 1CC22D46
	v_mfma_i32_16x16x32_i8 v[56:59], a[72:73], a[16:17], v[56:59]// 000000007594: D3D70038 1CE22148
	buffer_load_dwordx4 a[36:39], v42, s[24:27], 0 offen offset:1024// 00000000759C: E05C1400 8086242A
	v_mfma_i32_16x16x32_i8 v[56:59], a[74:75], a[18:19], v[56:59]// 0000000075A4: D3D70038 1CE2254A
	v_mfma_i32_16x16x32_i8 v[56:59], a[76:77], a[20:21], v[56:59]// 0000000075AC: D3D70038 1CE2294C
	v_mfma_i32_16x16x32_i8 v[56:59], a[78:79], a[22:23], v[56:59]// 0000000075B4: D3D70038 1CE22D4E
	v_mfma_i32_16x16x32_i8 v[64:67], a[80:81], a[16:17], v[64:67]// 0000000075BC: D3D70040 1D022150
	buffer_load_dwordx4 a[40:43], v43, s[24:27], 0 offen       // 0000000075C4: E05C1000 8086282B
	v_mfma_i32_16x16x32_i8 v[64:67], a[82:83], a[18:19], v[64:67]// 0000000075CC: D3D70040 1D022552
	v_mfma_i32_16x16x32_i8 v[64:67], a[84:85], a[20:21], v[64:67]// 0000000075D4: D3D70040 1D022954
	v_mfma_i32_16x16x32_i8 v[64:67], a[86:87], a[22:23], v[64:67]// 0000000075DC: D3D70040 1D022D56
	v_mfma_i32_16x16x32_i8 v[72:75], a[88:89], a[16:17], v[72:75]// 0000000075E4: D3D70048 1D222158
	buffer_load_dwordx4 a[44:47], v43, s[24:27], 0 offen offset:1024// 0000000075EC: E05C1400 80862C2B
	v_mfma_i32_16x16x32_i8 v[72:75], a[90:91], a[18:19], v[72:75]// 0000000075F4: D3D70048 1D22255A
	v_mfma_i32_16x16x32_i8 v[72:75], a[92:93], a[20:21], v[72:75]// 0000000075FC: D3D70048 1D22295C
	v_mfma_i32_16x16x32_i8 v[72:75], a[94:95], a[22:23], v[72:75]// 000000007604: D3D70048 1D222D5E
	v_mfma_i32_16x16x32_i8 v[52:55], a[64:65], a[24:25], v[52:55]// 00000000760C: D3D70034 1CD23140
	buffer_load_dwordx4 a[48:51], v44, s[24:27], 0 offen       // 000000007614: E05C1000 8086302C
	v_mfma_i32_16x16x32_i8 v[52:55], a[66:67], a[26:27], v[52:55]// 00000000761C: D3D70034 1CD23542
	v_mfma_i32_16x16x32_i8 v[52:55], a[68:69], a[28:29], v[52:55]// 000000007624: D3D70034 1CD23944
	v_mfma_i32_16x16x32_i8 v[52:55], a[70:71], a[30:31], v[52:55]// 00000000762C: D3D70034 1CD23D46
	v_mfma_i32_16x16x32_i8 v[60:63], a[72:73], a[24:25], v[60:63]// 000000007634: D3D7003C 1CF23148
	buffer_load_dwordx4 a[52:55], v44, s[24:27], 0 offen offset:1024// 00000000763C: E05C1400 8086342C
	v_mfma_i32_16x16x32_i8 v[60:63], a[74:75], a[26:27], v[60:63]// 000000007644: D3D7003C 1CF2354A
	v_mfma_i32_16x16x32_i8 v[60:63], a[76:77], a[28:29], v[60:63]// 00000000764C: D3D7003C 1CF2394C
	v_mfma_i32_16x16x32_i8 v[60:63], a[78:79], a[30:31], v[60:63]// 000000007654: D3D7003C 1CF23D4E
	v_mfma_i32_16x16x32_i8 v[68:71], a[80:81], a[24:25], v[68:71]// 00000000765C: D3D70044 1D123150
	buffer_load_dwordx4 a[56:59], v45, s[24:27], 0 offen       // 000000007664: E05C1000 8086382D
	v_mfma_i32_16x16x32_i8 v[68:71], a[82:83], a[26:27], v[68:71]// 00000000766C: D3D70044 1D123552
	v_mfma_i32_16x16x32_i8 v[68:71], a[84:85], a[28:29], v[68:71]// 000000007674: D3D70044 1D123954
	v_mfma_i32_16x16x32_i8 v[68:71], a[86:87], a[30:31], v[68:71]// 00000000767C: D3D70044 1D123D56
	v_mfma_i32_16x16x32_i8 v[76:79], a[88:89], a[24:25], v[76:79]// 000000007684: D3D7004C 1D323158
	buffer_load_dwordx4 a[60:63], v45, s[24:27], 0 offen offset:1024// 00000000768C: E05C1400 80863C2D
	buffer_load_dword v38, s[20:23], 0 offen lds               // 000000007694: E0511000 80050026
	s_add_u32 m0, 0x100, s49                                   // 00000000769C: 807C31FF 00000100
	v_mfma_i32_16x16x32_i8 v[76:79], a[90:91], a[26:27], v[76:79]// 0000000076A4: D3D7004C 1D32355A
	v_mfma_i32_16x16x32_i8 v[76:79], a[92:93], a[28:29], v[76:79]// 0000000076AC: D3D7004C 1D32395C
	buffer_load_dword v39, s[20:23], 0 offen lds               // 0000000076B4: E0511000 80050027
	s_add_u32 m0, 0x200, s49                                   // 0000000076BC: 807C31FF 00000200
	v_mfma_i32_16x16x32_i8 v[76:79], a[94:95], a[30:31], v[76:79]// 0000000076C4: D3D7004C 1D323D5E
	buffer_load_dword v40, s[20:23], 0 offen lds               // 0000000076CC: E0511000 80050028
	s_add_u32 m0, 0x300, s49                                   // 0000000076D4: 807C31FF 00000300
	buffer_load_dword v41, s[20:23], 0 offen lds               // 0000000076DC: E0511000 80050029
	s_add_u32 m0, 0, s50                                       // 0000000076E4: 807C3280
	s_waitcnt vmcnt(12)                                        // 0000000076E8: BF8C0F7C
	s_barrier                                                  // 0000000076EC: BF8A0000
	v_mfma_i32_16x16x32_i8 v[80:83], a[96:97], a[16:17], v[80:83]// 0000000076F0: D3D70050 1D422160
	buffer_load_dwordx4 a[64:67], v42, s[84:87], 0 offen       // 0000000076F8: E05C1000 8095402A
	v_mfma_i32_16x16x32_i8 v[80:83], a[98:99], a[18:19], v[80:83]// 000000007700: D3D70050 1D422562
	v_mfma_i32_16x16x32_i8 v[80:83], a[100:101], a[20:21], v[80:83]// 000000007708: D3D70050 1D422964
	ds_read_b128 a[0:3], v2                                    // 000000007710: DBFE0000 00000002
	ds_read_b128 a[4:7], v2 offset:64                          // 000000007718: DBFE0040 04000002
	v_mfma_i32_16x16x32_i8 v[80:83], a[102:103], a[22:23], v[80:83]// 000000007720: D3D70050 1D422D66
	v_mfma_i32_16x16x32_i8 v[88:91], a[104:105], a[16:17], v[88:91]// 000000007728: D3D70058 1D622168
	buffer_load_dwordx4 a[68:71], v42, s[84:87], 0 offen offset:1024// 000000007730: E05C1400 8095442A
	v_mfma_i32_16x16x32_i8 v[88:91], a[106:107], a[18:19], v[88:91]// 000000007738: D3D70058 1D62256A
	v_mfma_i32_16x16x32_i8 v[88:91], a[108:109], a[20:21], v[88:91]// 000000007740: D3D70058 1D62296C
	ds_read_b128 a[8:11], v2 offset:512                        // 000000007748: DBFE0200 08000002
	ds_read_b128 a[12:15], v2 offset:576                       // 000000007750: DBFE0240 0C000002
	v_mfma_i32_16x16x32_i8 v[88:91], a[110:111], a[22:23], v[88:91]// 000000007758: D3D70058 1D622D6E
	v_mfma_i32_16x16x32_i8 v[96:99], a[112:113], a[16:17], v[96:99]// 000000007760: D3D70060 1D822170
	buffer_load_dwordx4 a[72:75], v43, s[84:87], 0 offen       // 000000007768: E05C1000 8095482B
	v_mfma_i32_16x16x32_i8 v[96:99], a[114:115], a[18:19], v[96:99]// 000000007770: D3D70060 1D822572
	v_mfma_i32_16x16x32_i8 v[96:99], a[116:117], a[20:21], v[96:99]// 000000007778: D3D70060 1D822974
	v_mfma_i32_16x16x32_i8 v[96:99], a[118:119], a[22:23], v[96:99]// 000000007780: D3D70060 1D822D76
	v_mfma_i32_16x16x32_i8 v[104:107], a[120:121], a[16:17], v[104:107]// 000000007788: D3D70068 1DA22178
	buffer_load_dwordx4 a[76:79], v43, s[84:87], 0 offen offset:1024// 000000007790: E05C1400 80954C2B
	v_mfma_i32_16x16x32_i8 v[104:107], a[122:123], a[18:19], v[104:107]// 000000007798: D3D70068 1DA2257A
	v_mfma_i32_16x16x32_i8 v[104:107], a[124:125], a[20:21], v[104:107]// 0000000077A0: D3D70068 1DA2297C
	v_mfma_i32_16x16x32_i8 v[104:107], a[126:127], a[22:23], v[104:107]// 0000000077A8: D3D70068 1DA22D7E
	v_mfma_i32_16x16x32_i8 v[84:87], a[96:97], a[24:25], v[84:87]// 0000000077B0: D3D70054 1D523160
	buffer_load_dwordx4 a[80:83], v44, s[84:87], 0 offen       // 0000000077B8: E05C1000 8095502C
	v_mfma_i32_16x16x32_i8 v[84:87], a[98:99], a[26:27], v[84:87]// 0000000077C0: D3D70054 1D523562
	v_mfma_i32_16x16x32_i8 v[84:87], a[100:101], a[28:29], v[84:87]// 0000000077C8: D3D70054 1D523964
	v_mfma_i32_16x16x32_i8 v[84:87], a[102:103], a[30:31], v[84:87]// 0000000077D0: D3D70054 1D523D66
	v_mfma_i32_16x16x32_i8 v[92:95], a[104:105], a[24:25], v[92:95]// 0000000077D8: D3D7005C 1D723168
	buffer_load_dwordx4 a[84:87], v44, s[84:87], 0 offen offset:1024// 0000000077E0: E05C1400 8095542C
	v_mfma_i32_16x16x32_i8 v[92:95], a[106:107], a[26:27], v[92:95]// 0000000077E8: D3D7005C 1D72356A
	v_mfma_i32_16x16x32_i8 v[92:95], a[108:109], a[28:29], v[92:95]// 0000000077F0: D3D7005C 1D72396C
	v_mfma_i32_16x16x32_i8 v[92:95], a[110:111], a[30:31], v[92:95]// 0000000077F8: D3D7005C 1D723D6E
	v_mfma_i32_16x16x32_i8 v[100:103], a[112:113], a[24:25], v[100:103]// 000000007800: D3D70064 1D923170
	buffer_load_dwordx4 a[88:91], v45, s[84:87], 0 offen       // 000000007808: E05C1000 8095582D
	s_add_u32 s60, 0x180, s80                                  // 000000007810: 803C50FF 00000180
	s_cmp_lt_u32 s60, s81                                      // 000000007818: BF0A513C
	s_cselect_b32 s57, s57, 0                                  // 00000000781C: 85398039
	v_mfma_i32_16x16x32_i8 v[100:103], a[114:115], a[26:27], v[100:103]// 000000007820: D3D70064 1D923572
	s_add_u32 s60, 0x100, s80                                  // 000000007828: 803C50FF 00000100
	s_cmp_lt_u32 s60, s81                                      // 000000007830: BF0A513C
	s_cselect_b32 s58, s58, 0                                  // 000000007834: 853A803A
	v_mfma_i32_16x16x32_i8 v[100:103], a[116:117], a[28:29], v[100:103]// 000000007838: D3D70064 1D923974
	s_add_u32 s60, 0x100, s80                                  // 000000007840: 803C50FF 00000100
	s_cmp_lt_u32 s60, s81                                      // 000000007848: BF0A513C
	s_cselect_b32 s83, s83, 0                                  // 00000000784C: 85538053
	v_mfma_i32_16x16x32_i8 v[100:103], a[118:119], a[30:31], v[100:103]// 000000007850: D3D70064 1D923D76
	s_add_u32 s24, s58, s24                                    // 000000007858: 8018183A
	s_addc_u32 s25, 0, s25                                     // 00000000785C: 82191980
	v_mfma_i32_16x16x32_i8 v[108:111], a[120:121], a[24:25], v[108:111]// 000000007860: D3D7006C 1DB23178
	buffer_load_dwordx4 a[92:95], v45, s[84:87], 0 offen offset:1024// 000000007868: E05C1400 80955C2D
	s_add_u32 s20, s57, s20                                    // 000000007870: 80141439
	s_addc_u32 s21, 0, s21                                     // 000000007874: 82151580
	v_mfma_i32_16x16x32_i8 v[108:111], a[122:123], a[26:27], v[108:111]// 000000007878: D3D7006C 1DB2357A
	s_add_u32 s84, s83, s84                                    // 000000007880: 80545453
	s_addc_u32 s85, 0, s85                                     // 000000007884: 82555580
	v_mfma_i32_16x16x32_i8 v[108:111], a[124:125], a[28:29], v[108:111]// 000000007888: D3D7006C 1DB2397C
	v_mfma_i32_16x16x32_i8 v[108:111], a[126:127], a[30:31], v[108:111]// 000000007890: D3D7006C 1DB23D7E
	s_addk_i32 s80, 0x80                                       // 000000007898: B7500080
	s_cmp_lt_i32 s80, s81                                      // 00000000789C: BF045150
	s_cbranch_scc0 label_13AD                                  // 0000000078A0: BF840001
	s_branch label_0ED2                                        // 0000000078A4: BF82FB25

00000000000078a8 <label_13AD>:
	v_cvt_f32_i32_e32 v48, v48                                 // 0000000078A8: 7E600B30
	v_cvt_f32_i32_e32 v49, v49                                 // 0000000078AC: 7E620B31
	v_cvt_f32_i32_e32 v50, v50                                 // 0000000078B0: 7E640B32
	v_cvt_f32_i32_e32 v51, v51                                 // 0000000078B4: 7E660B33
	v_mul_f32_dpp v48, v24, v48 row_newbcast:0 row_mask:0xf bank_mask:0xf// 0000000078B8: 0A6060FA FF015018
	v_mul_f32_dpp v49, v24, v49 row_newbcast:1 row_mask:0xf bank_mask:0xf// 0000000078C0: 0A6262FA FF015118
	v_mul_f32_dpp v50, v24, v50 row_newbcast:2 row_mask:0xf bank_mask:0xf// 0000000078C8: 0A6464FA FF015218
	v_mul_f32_dpp v51, v24, v51 row_newbcast:3 row_mask:0xf bank_mask:0xf// 0000000078D0: 0A6666FA FF015318
	v_cvt_f32_i32_e32 v52, v52                                 // 0000000078D8: 7E680B34
	v_cvt_f32_i32_e32 v53, v53                                 // 0000000078DC: 7E6A0B35
	v_cvt_f32_i32_e32 v54, v54                                 // 0000000078E0: 7E6C0B36
	v_cvt_f32_i32_e32 v55, v55                                 // 0000000078E4: 7E6E0B37
	v_mul_f32_dpp v52, v24, v52 row_newbcast:0 row_mask:0xf bank_mask:0xf// 0000000078E8: 0A6868FA FF015018
	v_mul_f32_dpp v53, v24, v53 row_newbcast:1 row_mask:0xf bank_mask:0xf// 0000000078F0: 0A6A6AFA FF015118
	v_mul_f32_dpp v54, v24, v54 row_newbcast:2 row_mask:0xf bank_mask:0xf// 0000000078F8: 0A6C6CFA FF015218
	v_mul_f32_dpp v55, v24, v55 row_newbcast:3 row_mask:0xf bank_mask:0xf// 000000007900: 0A6E6EFA FF015318
	v_cvt_f32_i32_e32 v56, v56                                 // 000000007908: 7E700B38
	v_cvt_f32_i32_e32 v57, v57                                 // 00000000790C: 7E720B39
	v_cvt_f32_i32_e32 v58, v58                                 // 000000007910: 7E740B3A
	v_cvt_f32_i32_e32 v59, v59                                 // 000000007914: 7E760B3B
	v_mul_f32_dpp v56, v24, v56 row_newbcast:4 row_mask:0xf bank_mask:0xf// 000000007918: 0A7070FA FF015418
	v_mul_f32_dpp v57, v24, v57 row_newbcast:5 row_mask:0xf bank_mask:0xf// 000000007920: 0A7272FA FF015518
	v_mul_f32_dpp v58, v24, v58 row_newbcast:6 row_mask:0xf bank_mask:0xf// 000000007928: 0A7474FA FF015618
	v_mul_f32_dpp v59, v24, v59 row_newbcast:7 row_mask:0xf bank_mask:0xf// 000000007930: 0A7676FA FF015718
	v_cvt_f32_i32_e32 v60, v60                                 // 000000007938: 7E780B3C
	v_cvt_f32_i32_e32 v61, v61                                 // 00000000793C: 7E7A0B3D
	v_cvt_f32_i32_e32 v62, v62                                 // 000000007940: 7E7C0B3E
	v_cvt_f32_i32_e32 v63, v63                                 // 000000007944: 7E7E0B3F
	v_mul_f32_dpp v60, v24, v60 row_newbcast:4 row_mask:0xf bank_mask:0xf// 000000007948: 0A7878FA FF015418
	v_mul_f32_dpp v61, v24, v61 row_newbcast:5 row_mask:0xf bank_mask:0xf// 000000007950: 0A7A7AFA FF015518
	v_mul_f32_dpp v62, v24, v62 row_newbcast:6 row_mask:0xf bank_mask:0xf// 000000007958: 0A7C7CFA FF015618
	v_mul_f32_dpp v63, v24, v63 row_newbcast:7 row_mask:0xf bank_mask:0xf// 000000007960: 0A7E7EFA FF015718
	v_cvt_f32_i32_e32 v64, v64                                 // 000000007968: 7E800B40
	v_cvt_f32_i32_e32 v65, v65                                 // 00000000796C: 7E820B41
	v_cvt_f32_i32_e32 v66, v66                                 // 000000007970: 7E840B42
	v_cvt_f32_i32_e32 v67, v67                                 // 000000007974: 7E860B43
	v_mul_f32_dpp v64, v24, v64 row_newbcast:8 row_mask:0xf bank_mask:0xf// 000000007978: 0A8080FA FF015818
	v_mul_f32_dpp v65, v24, v65 row_newbcast:9 row_mask:0xf bank_mask:0xf// 000000007980: 0A8282FA FF015918
	v_mul_f32_dpp v66, v24, v66 row_newbcast:10 row_mask:0xf bank_mask:0xf// 000000007988: 0A8484FA FF015A18
	v_mul_f32_dpp v67, v24, v67 row_newbcast:11 row_mask:0xf bank_mask:0xf// 000000007990: 0A8686FA FF015B18
	v_cvt_f32_i32_e32 v68, v68                                 // 000000007998: 7E880B44
	v_cvt_f32_i32_e32 v69, v69                                 // 00000000799C: 7E8A0B45
	v_cvt_f32_i32_e32 v70, v70                                 // 0000000079A0: 7E8C0B46
	v_cvt_f32_i32_e32 v71, v71                                 // 0000000079A4: 7E8E0B47
	v_mul_f32_dpp v68, v24, v68 row_newbcast:8 row_mask:0xf bank_mask:0xf// 0000000079A8: 0A8888FA FF015818
	v_mul_f32_dpp v69, v24, v69 row_newbcast:9 row_mask:0xf bank_mask:0xf// 0000000079B0: 0A8A8AFA FF015918
	v_mul_f32_dpp v70, v24, v70 row_newbcast:10 row_mask:0xf bank_mask:0xf// 0000000079B8: 0A8C8CFA FF015A18
	v_mul_f32_dpp v71, v24, v71 row_newbcast:11 row_mask:0xf bank_mask:0xf// 0000000079C0: 0A8E8EFA FF015B18
	v_cvt_f32_i32_e32 v72, v72                                 // 0000000079C8: 7E900B48
	v_cvt_f32_i32_e32 v73, v73                                 // 0000000079CC: 7E920B49
	v_cvt_f32_i32_e32 v74, v74                                 // 0000000079D0: 7E940B4A
	v_cvt_f32_i32_e32 v75, v75                                 // 0000000079D4: 7E960B4B
	v_mul_f32_dpp v72, v24, v72 row_newbcast:12 row_mask:0xf bank_mask:0xf// 0000000079D8: 0A9090FA FF015C18
	v_mul_f32_dpp v73, v24, v73 row_newbcast:13 row_mask:0xf bank_mask:0xf// 0000000079E0: 0A9292FA FF015D18
	v_mul_f32_dpp v74, v24, v74 row_newbcast:14 row_mask:0xf bank_mask:0xf// 0000000079E8: 0A9494FA FF015E18
	v_mul_f32_dpp v75, v24, v75 row_newbcast:15 row_mask:0xf bank_mask:0xf// 0000000079F0: 0A9696FA FF015F18
	v_cvt_f32_i32_e32 v76, v76                                 // 0000000079F8: 7E980B4C
	v_cvt_f32_i32_e32 v77, v77                                 // 0000000079FC: 7E9A0B4D
	v_cvt_f32_i32_e32 v78, v78                                 // 000000007A00: 7E9C0B4E
	v_cvt_f32_i32_e32 v79, v79                                 // 000000007A04: 7E9E0B4F
	v_mul_f32_dpp v76, v24, v76 row_newbcast:12 row_mask:0xf bank_mask:0xf// 000000007A08: 0A9898FA FF015C18
	v_mul_f32_dpp v77, v24, v77 row_newbcast:13 row_mask:0xf bank_mask:0xf// 000000007A10: 0A9A9AFA FF015D18
	v_mul_f32_dpp v78, v24, v78 row_newbcast:14 row_mask:0xf bank_mask:0xf// 000000007A18: 0A9C9CFA FF015E18
	v_mul_f32_dpp v79, v24, v79 row_newbcast:15 row_mask:0xf bank_mask:0xf// 000000007A20: 0A9E9EFA FF015F18
	v_cvt_f32_i32_e32 v80, v80                                 // 000000007A28: 7EA00B50
	v_cvt_f32_i32_e32 v81, v81                                 // 000000007A2C: 7EA20B51
	v_cvt_f32_i32_e32 v82, v82                                 // 000000007A30: 7EA40B52
	v_cvt_f32_i32_e32 v83, v83                                 // 000000007A34: 7EA60B53
	v_mul_f32_dpp v80, v27, v80 row_newbcast:0 row_mask:0xf bank_mask:0xf// 000000007A38: 0AA0A0FA FF01501B
	v_mul_f32_dpp v81, v27, v81 row_newbcast:1 row_mask:0xf bank_mask:0xf// 000000007A40: 0AA2A2FA FF01511B
	v_mul_f32_dpp v82, v27, v82 row_newbcast:2 row_mask:0xf bank_mask:0xf// 000000007A48: 0AA4A4FA FF01521B
	v_mul_f32_dpp v83, v27, v83 row_newbcast:3 row_mask:0xf bank_mask:0xf// 000000007A50: 0AA6A6FA FF01531B
	v_cvt_f32_i32_e32 v84, v84                                 // 000000007A58: 7EA80B54
	v_cvt_f32_i32_e32 v85, v85                                 // 000000007A5C: 7EAA0B55
	v_cvt_f32_i32_e32 v86, v86                                 // 000000007A60: 7EAC0B56
	v_cvt_f32_i32_e32 v87, v87                                 // 000000007A64: 7EAE0B57
	v_mul_f32_dpp v84, v27, v84 row_newbcast:0 row_mask:0xf bank_mask:0xf// 000000007A68: 0AA8A8FA FF01501B
	v_mul_f32_dpp v85, v27, v85 row_newbcast:1 row_mask:0xf bank_mask:0xf// 000000007A70: 0AAAAAFA FF01511B
	v_mul_f32_dpp v86, v27, v86 row_newbcast:2 row_mask:0xf bank_mask:0xf// 000000007A78: 0AACACFA FF01521B
	v_mul_f32_dpp v87, v27, v87 row_newbcast:3 row_mask:0xf bank_mask:0xf// 000000007A80: 0AAEAEFA FF01531B
	v_cvt_f32_i32_e32 v88, v88                                 // 000000007A88: 7EB00B58
	v_cvt_f32_i32_e32 v89, v89                                 // 000000007A8C: 7EB20B59
	v_cvt_f32_i32_e32 v90, v90                                 // 000000007A90: 7EB40B5A
	v_cvt_f32_i32_e32 v91, v91                                 // 000000007A94: 7EB60B5B
	v_mul_f32_dpp v88, v27, v88 row_newbcast:4 row_mask:0xf bank_mask:0xf// 000000007A98: 0AB0B0FA FF01541B
	v_mul_f32_dpp v89, v27, v89 row_newbcast:5 row_mask:0xf bank_mask:0xf// 000000007AA0: 0AB2B2FA FF01551B
	v_mul_f32_dpp v90, v27, v90 row_newbcast:6 row_mask:0xf bank_mask:0xf// 000000007AA8: 0AB4B4FA FF01561B
	v_mul_f32_dpp v91, v27, v91 row_newbcast:7 row_mask:0xf bank_mask:0xf// 000000007AB0: 0AB6B6FA FF01571B
	v_cvt_f32_i32_e32 v92, v92                                 // 000000007AB8: 7EB80B5C
	v_cvt_f32_i32_e32 v93, v93                                 // 000000007ABC: 7EBA0B5D
	v_cvt_f32_i32_e32 v94, v94                                 // 000000007AC0: 7EBC0B5E
	v_cvt_f32_i32_e32 v95, v95                                 // 000000007AC4: 7EBE0B5F
	v_mul_f32_dpp v92, v27, v92 row_newbcast:4 row_mask:0xf bank_mask:0xf// 000000007AC8: 0AB8B8FA FF01541B
	v_mul_f32_dpp v93, v27, v93 row_newbcast:5 row_mask:0xf bank_mask:0xf// 000000007AD0: 0ABABAFA FF01551B
	v_mul_f32_dpp v94, v27, v94 row_newbcast:6 row_mask:0xf bank_mask:0xf// 000000007AD8: 0ABCBCFA FF01561B
	v_mul_f32_dpp v95, v27, v95 row_newbcast:7 row_mask:0xf bank_mask:0xf// 000000007AE0: 0ABEBEFA FF01571B
	v_cvt_f32_i32_e32 v96, v96                                 // 000000007AE8: 7EC00B60
	v_cvt_f32_i32_e32 v97, v97                                 // 000000007AEC: 7EC20B61
	v_cvt_f32_i32_e32 v98, v98                                 // 000000007AF0: 7EC40B62
	v_cvt_f32_i32_e32 v99, v99                                 // 000000007AF4: 7EC60B63
	v_mul_f32_dpp v96, v27, v96 row_newbcast:8 row_mask:0xf bank_mask:0xf// 000000007AF8: 0AC0C0FA FF01581B
	v_mul_f32_dpp v97, v27, v97 row_newbcast:9 row_mask:0xf bank_mask:0xf// 000000007B00: 0AC2C2FA FF01591B
	v_mul_f32_dpp v98, v27, v98 row_newbcast:10 row_mask:0xf bank_mask:0xf// 000000007B08: 0AC4C4FA FF015A1B
	v_mul_f32_dpp v99, v27, v99 row_newbcast:11 row_mask:0xf bank_mask:0xf// 000000007B10: 0AC6C6FA FF015B1B
	v_cvt_f32_i32_e32 v100, v100                               // 000000007B18: 7EC80B64
	v_cvt_f32_i32_e32 v101, v101                               // 000000007B1C: 7ECA0B65
	v_cvt_f32_i32_e32 v102, v102                               // 000000007B20: 7ECC0B66
	v_cvt_f32_i32_e32 v103, v103                               // 000000007B24: 7ECE0B67
	v_mul_f32_dpp v100, v27, v100 row_newbcast:8 row_mask:0xf bank_mask:0xf// 000000007B28: 0AC8C8FA FF01581B
	v_mul_f32_dpp v101, v27, v101 row_newbcast:9 row_mask:0xf bank_mask:0xf// 000000007B30: 0ACACAFA FF01591B
	v_mul_f32_dpp v102, v27, v102 row_newbcast:10 row_mask:0xf bank_mask:0xf// 000000007B38: 0ACCCCFA FF015A1B
	v_mul_f32_dpp v103, v27, v103 row_newbcast:11 row_mask:0xf bank_mask:0xf// 000000007B40: 0ACECEFA FF015B1B
	v_cvt_f32_i32_e32 v104, v104                               // 000000007B48: 7ED00B68
	v_cvt_f32_i32_e32 v105, v105                               // 000000007B4C: 7ED20B69
	v_cvt_f32_i32_e32 v106, v106                               // 000000007B50: 7ED40B6A
	v_cvt_f32_i32_e32 v107, v107                               // 000000007B54: 7ED60B6B
	v_mul_f32_dpp v104, v27, v104 row_newbcast:12 row_mask:0xf bank_mask:0xf// 000000007B58: 0AD0D0FA FF015C1B
	v_mul_f32_dpp v105, v27, v105 row_newbcast:13 row_mask:0xf bank_mask:0xf// 000000007B60: 0AD2D2FA FF015D1B
	v_mul_f32_dpp v106, v27, v106 row_newbcast:14 row_mask:0xf bank_mask:0xf// 000000007B68: 0AD4D4FA FF015E1B
	v_mul_f32_dpp v107, v27, v107 row_newbcast:15 row_mask:0xf bank_mask:0xf// 000000007B70: 0AD6D6FA FF015F1B
	v_cvt_f32_i32_e32 v108, v108                               // 000000007B78: 7ED80B6C
	v_cvt_f32_i32_e32 v109, v109                               // 000000007B7C: 7EDA0B6D
	v_cvt_f32_i32_e32 v110, v110                               // 000000007B80: 7EDC0B6E
	v_cvt_f32_i32_e32 v111, v111                               // 000000007B84: 7EDE0B6F
	v_mul_f32_dpp v108, v27, v108 row_newbcast:12 row_mask:0xf bank_mask:0xf// 000000007B88: 0AD8D8FA FF015C1B
	v_mul_f32_dpp v109, v27, v109 row_newbcast:13 row_mask:0xf bank_mask:0xf// 000000007B90: 0ADADAFA FF015D1B
	v_mul_f32_dpp v110, v27, v110 row_newbcast:14 row_mask:0xf bank_mask:0xf// 000000007B98: 0ADCDCFA FF015E1B
	v_mul_f32_dpp v111, v27, v111 row_newbcast:15 row_mask:0xf bank_mask:0xf// 000000007BA0: 0ADEDEFA FF015F1B
	v_mov_b32_e32 v4, v32                                      // 000000007BA8: 7E080320
	v_mov_b32_e32 v5, v4                                       // 000000007BAC: 7E0A0304
	v_pk_mul_f32 v[48:49], v[4:5], v[48:49]                    // 000000007BB0: D3B14030 18026104
	v_pk_mul_f32 v[80:81], v[4:5], v[80:81]                    // 000000007BB8: D3B14050 1802A104
	v_pk_mul_f32 v[50:51], v[4:5], v[50:51]                    // 000000007BC0: D3B14032 18026504
	v_pk_mul_f32 v[82:83], v[4:5], v[82:83]                    // 000000007BC8: D3B14052 1802A504
	v_pk_mul_f32 v[56:57], v[4:5], v[56:57]                    // 000000007BD0: D3B14038 18027104
	v_pk_mul_f32 v[88:89], v[4:5], v[88:89]                    // 000000007BD8: D3B14058 1802B104
	v_pk_mul_f32 v[58:59], v[4:5], v[58:59]                    // 000000007BE0: D3B1403A 18027504
	v_pk_mul_f32 v[90:91], v[4:5], v[90:91]                    // 000000007BE8: D3B1405A 1802B504
	v_pk_mul_f32 v[64:65], v[4:5], v[64:65]                    // 000000007BF0: D3B14040 18028104
	v_pk_mul_f32 v[96:97], v[4:5], v[96:97]                    // 000000007BF8: D3B14060 1802C104
	v_pk_mul_f32 v[66:67], v[4:5], v[66:67]                    // 000000007C00: D3B14042 18028504
	v_pk_mul_f32 v[98:99], v[4:5], v[98:99]                    // 000000007C08: D3B14062 1802C504
	v_pk_mul_f32 v[72:73], v[4:5], v[72:73]                    // 000000007C10: D3B14048 18029104
	v_pk_mul_f32 v[104:105], v[4:5], v[104:105]                // 000000007C18: D3B14068 1802D104
	v_pk_mul_f32 v[74:75], v[4:5], v[74:75]                    // 000000007C20: D3B1404A 18029504
	v_pk_mul_f32 v[106:107], v[4:5], v[106:107]                // 000000007C28: D3B1406A 1802D504
	v_mov_b32_e32 v4, v33                                      // 000000007C30: 7E080321
	v_mov_b32_e32 v5, v4                                       // 000000007C34: 7E0A0304
	v_pk_mul_f32 v[52:53], v[4:5], v[52:53]                    // 000000007C38: D3B14034 18026904
	v_pk_mul_f32 v[84:85], v[4:5], v[84:85]                    // 000000007C40: D3B14054 1802A904
	v_pk_mul_f32 v[54:55], v[4:5], v[54:55]                    // 000000007C48: D3B14036 18026D04
	v_pk_mul_f32 v[86:87], v[4:5], v[86:87]                    // 000000007C50: D3B14056 1802AD04
	v_pk_mul_f32 v[60:61], v[4:5], v[60:61]                    // 000000007C58: D3B1403C 18027904
	v_pk_mul_f32 v[92:93], v[4:5], v[92:93]                    // 000000007C60: D3B1405C 1802B904
	v_pk_mul_f32 v[62:63], v[4:5], v[62:63]                    // 000000007C68: D3B1403E 18027D04
	v_pk_mul_f32 v[94:95], v[4:5], v[94:95]                    // 000000007C70: D3B1405E 1802BD04
	v_pk_mul_f32 v[68:69], v[4:5], v[68:69]                    // 000000007C78: D3B14044 18028904
	v_pk_mul_f32 v[100:101], v[4:5], v[100:101]                // 000000007C80: D3B14064 1802C904
	v_pk_mul_f32 v[70:71], v[4:5], v[70:71]                    // 000000007C88: D3B14046 18028D04
	v_pk_mul_f32 v[102:103], v[4:5], v[102:103]                // 000000007C90: D3B14066 1802CD04
	v_pk_mul_f32 v[76:77], v[4:5], v[76:77]                    // 000000007C98: D3B1404C 18029904
	v_pk_mul_f32 v[108:109], v[4:5], v[108:109]                // 000000007CA0: D3B1406C 1802D904
	v_pk_mul_f32 v[78:79], v[4:5], v[78:79]                    // 000000007CA8: D3B1404E 18029D04
	v_pk_mul_f32 v[110:111], v[4:5], v[110:111]                // 000000007CB0: D3B1406E 1802DD04
	s_cmp_eq_u32 s88, 0                                        // 000000007CB8: BF068058
	s_cbranch_scc0 label_18DC                                  // 000000007CBC: BF840429
	s_cmp_eq_u32 s89, 0                                        // 000000007CC0: BF068059
	s_cbranch_scc1 label_15FA                                  // 000000007CC4: BF850145
	v_mov_b32_e32 v8, v1                                       // 000000007CC8: 7E100301
	v_mov_b32_e32 v9, v1                                       // 000000007CCC: 7E120301
	s_mov_b32 s60, s6                                          // 000000007CD0: BEBC0006
	s_mov_b32 s61, s6                                          // 000000007CD4: BEBD0006
	v_pk_mul_f32 v[4:5], v[48:49], v[48:49]                    // 000000007CD8: D3B14004 18026130
	v_pk_mul_f32 v[6:7], v[50:51], v[50:51]                    // 000000007CE0: D3B14006 18026532
	v_pk_fma_f32 v[4:5], v[4:5], s[78:79], v[8:9]              // 000000007CE8: D3B04004 1C209D04
	v_pk_fma_f32 v[6:7], v[6:7], s[78:79], v[8:9]              // 000000007CF0: D3B04006 1C209D06
	v_pk_mul_f32 v[4:5], v[4:5], v[48:49]                      // 000000007CF8: D3B14004 18026104
	v_pk_mul_f32 v[6:7], v[6:7], v[50:51]                      // 000000007D00: D3B14006 18026506
	v_pk_mul_f32 v[4:5], v[4:5], s[60:61]                      // 000000007D08: D3B14004 18007904
	v_pk_mul_f32 v[6:7], v[6:7], s[60:61]                      // 000000007D10: D3B14006 18007906
	v_exp_f32_e32 v4, v4                                       // 000000007D18: 7E084104
	v_exp_f32_e32 v5, v5                                       // 000000007D1C: 7E0A4105
	v_exp_f32_e32 v6, v6                                       // 000000007D20: 7E0C4106
	v_exp_f32_e32 v7, v7                                       // 000000007D24: 7E0E4107
	v_add_f32_e64 v4, v4, 1.0                                  // 000000007D28: D1010004 0001E504
	v_add_f32_e64 v5, v5, 1.0                                  // 000000007D30: D1010005 0001E505
	v_add_f32_e64 v6, v6, 1.0                                  // 000000007D38: D1010006 0001E506
	v_add_f32_e64 v7, v7, 1.0                                  // 000000007D40: D1010007 0001E507
	v_rcp_f32_e32 v4, v4                                       // 000000007D48: 7E084504
	v_rcp_f32_e32 v5, v5                                       // 000000007D4C: 7E0A4505
	v_rcp_f32_e32 v6, v6                                       // 000000007D50: 7E0C4506
	v_rcp_f32_e32 v7, v7                                       // 000000007D54: 7E0E4507
	v_mul_f32_e32 v48, v48, v4                                 // 000000007D58: 0A600930
	v_mul_f32_e32 v49, v49, v5                                 // 000000007D5C: 0A620B31
	v_mul_f32_e32 v50, v50, v6                                 // 000000007D60: 0A640D32
	v_mul_f32_e32 v51, v51, v7                                 // 000000007D64: 0A660F33
	v_mul_f32_e32 v48, v48, v80                                // 000000007D68: 0A60A130
	v_mul_f32_e32 v49, v49, v81                                // 000000007D6C: 0A62A331
	v_mul_f32_e32 v50, v50, v82                                // 000000007D70: 0A64A532
	v_mul_f32_e32 v51, v51, v83                                // 000000007D74: 0A66A733
	v_pk_mul_f32 v[4:5], v[52:53], v[52:53]                    // 000000007D78: D3B14004 18026934
	v_pk_mul_f32 v[6:7], v[54:55], v[54:55]                    // 000000007D80: D3B14006 18026D36
	v_pk_fma_f32 v[4:5], v[4:5], s[78:79], v[8:9]              // 000000007D88: D3B04004 1C209D04
	v_pk_fma_f32 v[6:7], v[6:7], s[78:79], v[8:9]              // 000000007D90: D3B04006 1C209D06
	v_pk_mul_f32 v[4:5], v[4:5], v[52:53]                      // 000000007D98: D3B14004 18026904
	v_pk_mul_f32 v[6:7], v[6:7], v[54:55]                      // 000000007DA0: D3B14006 18026D06
	v_pk_mul_f32 v[4:5], v[4:5], s[60:61]                      // 000000007DA8: D3B14004 18007904
	v_pk_mul_f32 v[6:7], v[6:7], s[60:61]                      // 000000007DB0: D3B14006 18007906
	v_exp_f32_e32 v4, v4                                       // 000000007DB8: 7E084104
	v_exp_f32_e32 v5, v5                                       // 000000007DBC: 7E0A4105
	v_exp_f32_e32 v6, v6                                       // 000000007DC0: 7E0C4106
	v_exp_f32_e32 v7, v7                                       // 000000007DC4: 7E0E4107
	v_add_f32_e64 v4, v4, 1.0                                  // 000000007DC8: D1010004 0001E504
	v_add_f32_e64 v5, v5, 1.0                                  // 000000007DD0: D1010005 0001E505
	v_add_f32_e64 v6, v6, 1.0                                  // 000000007DD8: D1010006 0001E506
	v_add_f32_e64 v7, v7, 1.0                                  // 000000007DE0: D1010007 0001E507
	v_rcp_f32_e32 v4, v4                                       // 000000007DE8: 7E084504
	v_rcp_f32_e32 v5, v5                                       // 000000007DEC: 7E0A4505
	v_rcp_f32_e32 v6, v6                                       // 000000007DF0: 7E0C4506
	v_rcp_f32_e32 v7, v7                                       // 000000007DF4: 7E0E4507
	v_mul_f32_e32 v52, v52, v4                                 // 000000007DF8: 0A680934
	v_mul_f32_e32 v53, v53, v5                                 // 000000007DFC: 0A6A0B35
	v_mul_f32_e32 v54, v54, v6                                 // 000000007E00: 0A6C0D36
	v_mul_f32_e32 v55, v55, v7                                 // 000000007E04: 0A6E0F37
	v_mul_f32_e32 v52, v52, v84                                // 000000007E08: 0A68A934
	v_mul_f32_e32 v53, v53, v85                                // 000000007E0C: 0A6AAB35
	v_mul_f32_e32 v54, v54, v86                                // 000000007E10: 0A6CAD36
	v_mul_f32_e32 v55, v55, v87                                // 000000007E14: 0A6EAF37
	v_pk_mul_f32 v[4:5], v[56:57], v[56:57]                    // 000000007E18: D3B14004 18027138
	v_pk_mul_f32 v[6:7], v[58:59], v[58:59]                    // 000000007E20: D3B14006 1802753A
	v_pk_fma_f32 v[4:5], v[4:5], s[78:79], v[8:9]              // 000000007E28: D3B04004 1C209D04
	v_pk_fma_f32 v[6:7], v[6:7], s[78:79], v[8:9]              // 000000007E30: D3B04006 1C209D06
	v_pk_mul_f32 v[4:5], v[4:5], v[56:57]                      // 000000007E38: D3B14004 18027104
	v_pk_mul_f32 v[6:7], v[6:7], v[58:59]                      // 000000007E40: D3B14006 18027506
	v_pk_mul_f32 v[4:5], v[4:5], s[60:61]                      // 000000007E48: D3B14004 18007904
	v_pk_mul_f32 v[6:7], v[6:7], s[60:61]                      // 000000007E50: D3B14006 18007906
	v_exp_f32_e32 v4, v4                                       // 000000007E58: 7E084104
	v_exp_f32_e32 v5, v5                                       // 000000007E5C: 7E0A4105
	v_exp_f32_e32 v6, v6                                       // 000000007E60: 7E0C4106
	v_exp_f32_e32 v7, v7                                       // 000000007E64: 7E0E4107
	v_add_f32_e64 v4, v4, 1.0                                  // 000000007E68: D1010004 0001E504
	v_add_f32_e64 v5, v5, 1.0                                  // 000000007E70: D1010005 0001E505
	v_add_f32_e64 v6, v6, 1.0                                  // 000000007E78: D1010006 0001E506
	v_add_f32_e64 v7, v7, 1.0                                  // 000000007E80: D1010007 0001E507
	v_rcp_f32_e32 v4, v4                                       // 000000007E88: 7E084504
	v_rcp_f32_e32 v5, v5                                       // 000000007E8C: 7E0A4505
	v_rcp_f32_e32 v6, v6                                       // 000000007E90: 7E0C4506
	v_rcp_f32_e32 v7, v7                                       // 000000007E94: 7E0E4507
	v_mul_f32_e32 v56, v56, v4                                 // 000000007E98: 0A700938
	v_mul_f32_e32 v57, v57, v5                                 // 000000007E9C: 0A720B39
	v_mul_f32_e32 v58, v58, v6                                 // 000000007EA0: 0A740D3A
	v_mul_f32_e32 v59, v59, v7                                 // 000000007EA4: 0A760F3B
	v_mul_f32_e32 v56, v56, v88                                // 000000007EA8: 0A70B138
	v_mul_f32_e32 v57, v57, v89                                // 000000007EAC: 0A72B339
	v_mul_f32_e32 v58, v58, v90                                // 000000007EB0: 0A74B53A
	v_mul_f32_e32 v59, v59, v91                                // 000000007EB4: 0A76B73B
	v_pk_mul_f32 v[4:5], v[60:61], v[60:61]                    // 000000007EB8: D3B14004 1802793C
	v_pk_mul_f32 v[6:7], v[62:63], v[62:63]                    // 000000007EC0: D3B14006 18027D3E
	v_pk_fma_f32 v[4:5], v[4:5], s[78:79], v[8:9]              // 000000007EC8: D3B04004 1C209D04
	v_pk_fma_f32 v[6:7], v[6:7], s[78:79], v[8:9]              // 000000007ED0: D3B04006 1C209D06
	v_pk_mul_f32 v[4:5], v[4:5], v[60:61]                      // 000000007ED8: D3B14004 18027904
	v_pk_mul_f32 v[6:7], v[6:7], v[62:63]                      // 000000007EE0: D3B14006 18027D06
	v_pk_mul_f32 v[4:5], v[4:5], s[60:61]                      // 000000007EE8: D3B14004 18007904
	v_pk_mul_f32 v[6:7], v[6:7], s[60:61]                      // 000000007EF0: D3B14006 18007906
	v_exp_f32_e32 v4, v4                                       // 000000007EF8: 7E084104
	v_exp_f32_e32 v5, v5                                       // 000000007EFC: 7E0A4105
	v_exp_f32_e32 v6, v6                                       // 000000007F00: 7E0C4106
	v_exp_f32_e32 v7, v7                                       // 000000007F04: 7E0E4107
	v_add_f32_e64 v4, v4, 1.0                                  // 000000007F08: D1010004 0001E504
	v_add_f32_e64 v5, v5, 1.0                                  // 000000007F10: D1010005 0001E505
	v_add_f32_e64 v6, v6, 1.0                                  // 000000007F18: D1010006 0001E506
	v_add_f32_e64 v7, v7, 1.0                                  // 000000007F20: D1010007 0001E507
	v_rcp_f32_e32 v4, v4                                       // 000000007F28: 7E084504
	v_rcp_f32_e32 v5, v5                                       // 000000007F2C: 7E0A4505
	v_rcp_f32_e32 v6, v6                                       // 000000007F30: 7E0C4506
	v_rcp_f32_e32 v7, v7                                       // 000000007F34: 7E0E4507
	v_mul_f32_e32 v60, v60, v4                                 // 000000007F38: 0A78093C
	v_mul_f32_e32 v61, v61, v5                                 // 000000007F3C: 0A7A0B3D
	v_mul_f32_e32 v62, v62, v6                                 // 000000007F40: 0A7C0D3E
	v_mul_f32_e32 v63, v63, v7                                 // 000000007F44: 0A7E0F3F
	v_mul_f32_e32 v60, v60, v92                                // 000000007F48: 0A78B93C
	v_mul_f32_e32 v61, v61, v93                                // 000000007F4C: 0A7ABB3D
	v_mul_f32_e32 v62, v62, v94                                // 000000007F50: 0A7CBD3E
	v_mul_f32_e32 v63, v63, v95                                // 000000007F54: 0A7EBF3F
	v_pk_mul_f32 v[4:5], v[64:65], v[64:65]                    // 000000007F58: D3B14004 18028140
	v_pk_mul_f32 v[6:7], v[66:67], v[66:67]                    // 000000007F60: D3B14006 18028542
	v_pk_fma_f32 v[4:5], v[4:5], s[78:79], v[8:9]              // 000000007F68: D3B04004 1C209D04
	v_pk_fma_f32 v[6:7], v[6:7], s[78:79], v[8:9]              // 000000007F70: D3B04006 1C209D06
	v_pk_mul_f32 v[4:5], v[4:5], v[64:65]                      // 000000007F78: D3B14004 18028104
	v_pk_mul_f32 v[6:7], v[6:7], v[66:67]                      // 000000007F80: D3B14006 18028506
	v_pk_mul_f32 v[4:5], v[4:5], s[60:61]                      // 000000007F88: D3B14004 18007904
	v_pk_mul_f32 v[6:7], v[6:7], s[60:61]                      // 000000007F90: D3B14006 18007906
	v_exp_f32_e32 v4, v4                                       // 000000007F98: 7E084104
	v_exp_f32_e32 v5, v5                                       // 000000007F9C: 7E0A4105
	v_exp_f32_e32 v6, v6                                       // 000000007FA0: 7E0C4106
	v_exp_f32_e32 v7, v7                                       // 000000007FA4: 7E0E4107
	v_add_f32_e64 v4, v4, 1.0                                  // 000000007FA8: D1010004 0001E504
	v_add_f32_e64 v5, v5, 1.0                                  // 000000007FB0: D1010005 0001E505
	v_add_f32_e64 v6, v6, 1.0                                  // 000000007FB8: D1010006 0001E506
	v_add_f32_e64 v7, v7, 1.0                                  // 000000007FC0: D1010007 0001E507
	v_rcp_f32_e32 v4, v4                                       // 000000007FC8: 7E084504
	v_rcp_f32_e32 v5, v5                                       // 000000007FCC: 7E0A4505
	v_rcp_f32_e32 v6, v6                                       // 000000007FD0: 7E0C4506
	v_rcp_f32_e32 v7, v7                                       // 000000007FD4: 7E0E4507
	v_mul_f32_e32 v64, v64, v4                                 // 000000007FD8: 0A800940
	v_mul_f32_e32 v65, v65, v5                                 // 000000007FDC: 0A820B41
	v_mul_f32_e32 v66, v66, v6                                 // 000000007FE0: 0A840D42
	v_mul_f32_e32 v67, v67, v7                                 // 000000007FE4: 0A860F43
	v_mul_f32_e32 v64, v64, v96                                // 000000007FE8: 0A80C140
	v_mul_f32_e32 v65, v65, v97                                // 000000007FEC: 0A82C341
	v_mul_f32_e32 v66, v66, v98                                // 000000007FF0: 0A84C542
	v_mul_f32_e32 v67, v67, v99                                // 000000007FF4: 0A86C743
	v_pk_mul_f32 v[4:5], v[68:69], v[68:69]                    // 000000007FF8: D3B14004 18028944
	v_pk_mul_f32 v[6:7], v[70:71], v[70:71]                    // 000000008000: D3B14006 18028D46
	v_pk_fma_f32 v[4:5], v[4:5], s[78:79], v[8:9]              // 000000008008: D3B04004 1C209D04
	v_pk_fma_f32 v[6:7], v[6:7], s[78:79], v[8:9]              // 000000008010: D3B04006 1C209D06
	v_pk_mul_f32 v[4:5], v[4:5], v[68:69]                      // 000000008018: D3B14004 18028904
	v_pk_mul_f32 v[6:7], v[6:7], v[70:71]                      // 000000008020: D3B14006 18028D06
	v_pk_mul_f32 v[4:5], v[4:5], s[60:61]                      // 000000008028: D3B14004 18007904
	v_pk_mul_f32 v[6:7], v[6:7], s[60:61]                      // 000000008030: D3B14006 18007906
	v_exp_f32_e32 v4, v4                                       // 000000008038: 7E084104
	v_exp_f32_e32 v5, v5                                       // 00000000803C: 7E0A4105
	v_exp_f32_e32 v6, v6                                       // 000000008040: 7E0C4106
	v_exp_f32_e32 v7, v7                                       // 000000008044: 7E0E4107
	v_add_f32_e64 v4, v4, 1.0                                  // 000000008048: D1010004 0001E504
	v_add_f32_e64 v5, v5, 1.0                                  // 000000008050: D1010005 0001E505
	v_add_f32_e64 v6, v6, 1.0                                  // 000000008058: D1010006 0001E506
	v_add_f32_e64 v7, v7, 1.0                                  // 000000008060: D1010007 0001E507
	v_rcp_f32_e32 v4, v4                                       // 000000008068: 7E084504
	v_rcp_f32_e32 v5, v5                                       // 00000000806C: 7E0A4505
	v_rcp_f32_e32 v6, v6                                       // 000000008070: 7E0C4506
	v_rcp_f32_e32 v7, v7                                       // 000000008074: 7E0E4507
	v_mul_f32_e32 v68, v68, v4                                 // 000000008078: 0A880944
	v_mul_f32_e32 v69, v69, v5                                 // 00000000807C: 0A8A0B45
	v_mul_f32_e32 v70, v70, v6                                 // 000000008080: 0A8C0D46
	v_mul_f32_e32 v71, v71, v7                                 // 000000008084: 0A8E0F47
	v_mul_f32_e32 v68, v68, v100                               // 000000008088: 0A88C944
	v_mul_f32_e32 v69, v69, v101                               // 00000000808C: 0A8ACB45
	v_mul_f32_e32 v70, v70, v102                               // 000000008090: 0A8CCD46
	v_mul_f32_e32 v71, v71, v103                               // 000000008094: 0A8ECF47
	v_pk_mul_f32 v[4:5], v[72:73], v[72:73]                    // 000000008098: D3B14004 18029148
	v_pk_mul_f32 v[6:7], v[74:75], v[74:75]                    // 0000000080A0: D3B14006 1802954A
	v_pk_fma_f32 v[4:5], v[4:5], s[78:79], v[8:9]              // 0000000080A8: D3B04004 1C209D04
	v_pk_fma_f32 v[6:7], v[6:7], s[78:79], v[8:9]              // 0000000080B0: D3B04006 1C209D06
	v_pk_mul_f32 v[4:5], v[4:5], v[72:73]                      // 0000000080B8: D3B14004 18029104
	v_pk_mul_f32 v[6:7], v[6:7], v[74:75]                      // 0000000080C0: D3B14006 18029506
	v_pk_mul_f32 v[4:5], v[4:5], s[60:61]                      // 0000000080C8: D3B14004 18007904
	v_pk_mul_f32 v[6:7], v[6:7], s[60:61]                      // 0000000080D0: D3B14006 18007906
	v_exp_f32_e32 v4, v4                                       // 0000000080D8: 7E084104
	v_exp_f32_e32 v5, v5                                       // 0000000080DC: 7E0A4105
	v_exp_f32_e32 v6, v6                                       // 0000000080E0: 7E0C4106
	v_exp_f32_e32 v7, v7                                       // 0000000080E4: 7E0E4107
	v_add_f32_e64 v4, v4, 1.0                                  // 0000000080E8: D1010004 0001E504
	v_add_f32_e64 v5, v5, 1.0                                  // 0000000080F0: D1010005 0001E505
	v_add_f32_e64 v6, v6, 1.0                                  // 0000000080F8: D1010006 0001E506
	v_add_f32_e64 v7, v7, 1.0                                  // 000000008100: D1010007 0001E507
	v_rcp_f32_e32 v4, v4                                       // 000000008108: 7E084504
	v_rcp_f32_e32 v5, v5                                       // 00000000810C: 7E0A4505
	v_rcp_f32_e32 v6, v6                                       // 000000008110: 7E0C4506
	v_rcp_f32_e32 v7, v7                                       // 000000008114: 7E0E4507
	v_mul_f32_e32 v72, v72, v4                                 // 000000008118: 0A900948
	v_mul_f32_e32 v73, v73, v5                                 // 00000000811C: 0A920B49
	v_mul_f32_e32 v74, v74, v6                                 // 000000008120: 0A940D4A
	v_mul_f32_e32 v75, v75, v7                                 // 000000008124: 0A960F4B
	v_mul_f32_e32 v72, v72, v104                               // 000000008128: 0A90D148
	v_mul_f32_e32 v73, v73, v105                               // 00000000812C: 0A92D349
	v_mul_f32_e32 v74, v74, v106                               // 000000008130: 0A94D54A
	v_mul_f32_e32 v75, v75, v107                               // 000000008134: 0A96D74B
	v_pk_mul_f32 v[4:5], v[76:77], v[76:77]                    // 000000008138: D3B14004 1802994C
	v_pk_mul_f32 v[6:7], v[78:79], v[78:79]                    // 000000008140: D3B14006 18029D4E
	v_pk_fma_f32 v[4:5], v[4:5], s[78:79], v[8:9]              // 000000008148: D3B04004 1C209D04
	v_pk_fma_f32 v[6:7], v[6:7], s[78:79], v[8:9]              // 000000008150: D3B04006 1C209D06
	v_pk_mul_f32 v[4:5], v[4:5], v[76:77]                      // 000000008158: D3B14004 18029904
	v_pk_mul_f32 v[6:7], v[6:7], v[78:79]                      // 000000008160: D3B14006 18029D06
	v_pk_mul_f32 v[4:5], v[4:5], s[60:61]                      // 000000008168: D3B14004 18007904
	v_pk_mul_f32 v[6:7], v[6:7], s[60:61]                      // 000000008170: D3B14006 18007906
	v_exp_f32_e32 v4, v4                                       // 000000008178: 7E084104
	v_exp_f32_e32 v5, v5                                       // 00000000817C: 7E0A4105
	v_exp_f32_e32 v6, v6                                       // 000000008180: 7E0C4106
	v_exp_f32_e32 v7, v7                                       // 000000008184: 7E0E4107
	v_add_f32_e64 v4, v4, 1.0                                  // 000000008188: D1010004 0001E504
	v_add_f32_e64 v5, v5, 1.0                                  // 000000008190: D1010005 0001E505
	v_add_f32_e64 v6, v6, 1.0                                  // 000000008198: D1010006 0001E506
	v_add_f32_e64 v7, v7, 1.0                                  // 0000000081A0: D1010007 0001E507
	v_rcp_f32_e32 v4, v4                                       // 0000000081A8: 7E084504
	v_rcp_f32_e32 v5, v5                                       // 0000000081AC: 7E0A4505
	v_rcp_f32_e32 v6, v6                                       // 0000000081B0: 7E0C4506
	v_rcp_f32_e32 v7, v7                                       // 0000000081B4: 7E0E4507
	v_mul_f32_e32 v76, v76, v4                                 // 0000000081B8: 0A98094C
	v_mul_f32_e32 v77, v77, v5                                 // 0000000081BC: 0A9A0B4D
	v_mul_f32_e32 v78, v78, v6                                 // 0000000081C0: 0A9C0D4E
	v_mul_f32_e32 v79, v79, v7                                 // 0000000081C4: 0A9E0F4F
	v_mul_f32_e32 v76, v76, v108                               // 0000000081C8: 0A98D94C
	v_mul_f32_e32 v77, v77, v109                               // 0000000081CC: 0A9ADB4D
	v_mul_f32_e32 v78, v78, v110                               // 0000000081D0: 0A9CDD4E
	v_mul_f32_e32 v79, v79, v111                               // 0000000081D4: 0A9EDF4F
	s_branch label_16FA                                        // 0000000081D8: BF820100

00000000000081dc <label_15FA>:
	v_mul_f32_e64 v4, -v48, s6                                 // 0000000081DC: D1050004 20000D30
	v_mul_f32_e64 v5, -v49, s6                                 // 0000000081E4: D1050005 20000D31
	v_mul_f32_e64 v6, -v50, s6                                 // 0000000081EC: D1050006 20000D32
	v_mul_f32_e64 v7, -v51, s6                                 // 0000000081F4: D1050007 20000D33
	v_exp_f32_e32 v4, v4                                       // 0000000081FC: 7E084104
	v_exp_f32_e32 v5, v5                                       // 000000008200: 7E0A4105
	v_exp_f32_e32 v6, v6                                       // 000000008204: 7E0C4106
	v_exp_f32_e32 v7, v7                                       // 000000008208: 7E0E4107
	v_add_f32_e64 v4, v4, 1.0                                  // 00000000820C: D1010004 0001E504
	v_add_f32_e64 v5, v5, 1.0                                  // 000000008214: D1010005 0001E505
	v_add_f32_e64 v6, v6, 1.0                                  // 00000000821C: D1010006 0001E506
	v_add_f32_e64 v7, v7, 1.0                                  // 000000008224: D1010007 0001E507
	v_rcp_f32_e32 v4, v4                                       // 00000000822C: 7E084504
	v_rcp_f32_e32 v5, v5                                       // 000000008230: 7E0A4505
	v_rcp_f32_e32 v6, v6                                       // 000000008234: 7E0C4506
	v_rcp_f32_e32 v7, v7                                       // 000000008238: 7E0E4507
	v_mul_f32_e32 v48, v48, v4                                 // 00000000823C: 0A600930
	v_mul_f32_e32 v49, v49, v5                                 // 000000008240: 0A620B31
	v_mul_f32_e32 v50, v50, v6                                 // 000000008244: 0A640D32
	v_mul_f32_e32 v51, v51, v7                                 // 000000008248: 0A660F33
	v_mul_f32_e32 v48, v48, v80                                // 00000000824C: 0A60A130
	v_mul_f32_e32 v49, v49, v81                                // 000000008250: 0A62A331
	v_mul_f32_e32 v50, v50, v82                                // 000000008254: 0A64A532
	v_mul_f32_e32 v51, v51, v83                                // 000000008258: 0A66A733
	v_mul_f32_e64 v4, -v52, s6                                 // 00000000825C: D1050004 20000D34
	v_mul_f32_e64 v5, -v53, s6                                 // 000000008264: D1050005 20000D35
	v_mul_f32_e64 v6, -v54, s6                                 // 00000000826C: D1050006 20000D36
	v_mul_f32_e64 v7, -v55, s6                                 // 000000008274: D1050007 20000D37
	v_exp_f32_e32 v4, v4                                       // 00000000827C: 7E084104
	v_exp_f32_e32 v5, v5                                       // 000000008280: 7E0A4105
	v_exp_f32_e32 v6, v6                                       // 000000008284: 7E0C4106
	v_exp_f32_e32 v7, v7                                       // 000000008288: 7E0E4107
	v_add_f32_e64 v4, v4, 1.0                                  // 00000000828C: D1010004 0001E504
	v_add_f32_e64 v5, v5, 1.0                                  // 000000008294: D1010005 0001E505
	v_add_f32_e64 v6, v6, 1.0                                  // 00000000829C: D1010006 0001E506
	v_add_f32_e64 v7, v7, 1.0                                  // 0000000082A4: D1010007 0001E507
	v_rcp_f32_e32 v4, v4                                       // 0000000082AC: 7E084504
	v_rcp_f32_e32 v5, v5                                       // 0000000082B0: 7E0A4505
	v_rcp_f32_e32 v6, v6                                       // 0000000082B4: 7E0C4506
	v_rcp_f32_e32 v7, v7                                       // 0000000082B8: 7E0E4507
	v_mul_f32_e32 v52, v52, v4                                 // 0000000082BC: 0A680934
	v_mul_f32_e32 v53, v53, v5                                 // 0000000082C0: 0A6A0B35
	v_mul_f32_e32 v54, v54, v6                                 // 0000000082C4: 0A6C0D36
	v_mul_f32_e32 v55, v55, v7                                 // 0000000082C8: 0A6E0F37
	v_mul_f32_e32 v52, v52, v84                                // 0000000082CC: 0A68A934
	v_mul_f32_e32 v53, v53, v85                                // 0000000082D0: 0A6AAB35
	v_mul_f32_e32 v54, v54, v86                                // 0000000082D4: 0A6CAD36
	v_mul_f32_e32 v55, v55, v87                                // 0000000082D8: 0A6EAF37
	v_mul_f32_e64 v4, -v56, s6                                 // 0000000082DC: D1050004 20000D38
	v_mul_f32_e64 v5, -v57, s6                                 // 0000000082E4: D1050005 20000D39
	v_mul_f32_e64 v6, -v58, s6                                 // 0000000082EC: D1050006 20000D3A
	v_mul_f32_e64 v7, -v59, s6                                 // 0000000082F4: D1050007 20000D3B
	v_exp_f32_e32 v4, v4                                       // 0000000082FC: 7E084104
	v_exp_f32_e32 v5, v5                                       // 000000008300: 7E0A4105
	v_exp_f32_e32 v6, v6                                       // 000000008304: 7E0C4106
	v_exp_f32_e32 v7, v7                                       // 000000008308: 7E0E4107
	v_add_f32_e64 v4, v4, 1.0                                  // 00000000830C: D1010004 0001E504
	v_add_f32_e64 v5, v5, 1.0                                  // 000000008314: D1010005 0001E505
	v_add_f32_e64 v6, v6, 1.0                                  // 00000000831C: D1010006 0001E506
	v_add_f32_e64 v7, v7, 1.0                                  // 000000008324: D1010007 0001E507
	v_rcp_f32_e32 v4, v4                                       // 00000000832C: 7E084504
	v_rcp_f32_e32 v5, v5                                       // 000000008330: 7E0A4505
	v_rcp_f32_e32 v6, v6                                       // 000000008334: 7E0C4506
	v_rcp_f32_e32 v7, v7                                       // 000000008338: 7E0E4507
	v_mul_f32_e32 v56, v56, v4                                 // 00000000833C: 0A700938
	v_mul_f32_e32 v57, v57, v5                                 // 000000008340: 0A720B39
	v_mul_f32_e32 v58, v58, v6                                 // 000000008344: 0A740D3A
	v_mul_f32_e32 v59, v59, v7                                 // 000000008348: 0A760F3B
	v_mul_f32_e32 v56, v56, v88                                // 00000000834C: 0A70B138
	v_mul_f32_e32 v57, v57, v89                                // 000000008350: 0A72B339
	v_mul_f32_e32 v58, v58, v90                                // 000000008354: 0A74B53A
	v_mul_f32_e32 v59, v59, v91                                // 000000008358: 0A76B73B
	v_mul_f32_e64 v4, -v60, s6                                 // 00000000835C: D1050004 20000D3C
	v_mul_f32_e64 v5, -v61, s6                                 // 000000008364: D1050005 20000D3D
	v_mul_f32_e64 v6, -v62, s6                                 // 00000000836C: D1050006 20000D3E
	v_mul_f32_e64 v7, -v63, s6                                 // 000000008374: D1050007 20000D3F
	v_exp_f32_e32 v4, v4                                       // 00000000837C: 7E084104
	v_exp_f32_e32 v5, v5                                       // 000000008380: 7E0A4105
	v_exp_f32_e32 v6, v6                                       // 000000008384: 7E0C4106
	v_exp_f32_e32 v7, v7                                       // 000000008388: 7E0E4107
	v_add_f32_e64 v4, v4, 1.0                                  // 00000000838C: D1010004 0001E504
	v_add_f32_e64 v5, v5, 1.0                                  // 000000008394: D1010005 0001E505
	v_add_f32_e64 v6, v6, 1.0                                  // 00000000839C: D1010006 0001E506
	v_add_f32_e64 v7, v7, 1.0                                  // 0000000083A4: D1010007 0001E507
	v_rcp_f32_e32 v4, v4                                       // 0000000083AC: 7E084504
	v_rcp_f32_e32 v5, v5                                       // 0000000083B0: 7E0A4505
	v_rcp_f32_e32 v6, v6                                       // 0000000083B4: 7E0C4506
	v_rcp_f32_e32 v7, v7                                       // 0000000083B8: 7E0E4507
	v_mul_f32_e32 v60, v60, v4                                 // 0000000083BC: 0A78093C
	v_mul_f32_e32 v61, v61, v5                                 // 0000000083C0: 0A7A0B3D
	v_mul_f32_e32 v62, v62, v6                                 // 0000000083C4: 0A7C0D3E
	v_mul_f32_e32 v63, v63, v7                                 // 0000000083C8: 0A7E0F3F
	v_mul_f32_e32 v60, v60, v92                                // 0000000083CC: 0A78B93C
	v_mul_f32_e32 v61, v61, v93                                // 0000000083D0: 0A7ABB3D
	v_mul_f32_e32 v62, v62, v94                                // 0000000083D4: 0A7CBD3E
	v_mul_f32_e32 v63, v63, v95                                // 0000000083D8: 0A7EBF3F
	v_mul_f32_e64 v4, -v64, s6                                 // 0000000083DC: D1050004 20000D40
	v_mul_f32_e64 v5, -v65, s6                                 // 0000000083E4: D1050005 20000D41
	v_mul_f32_e64 v6, -v66, s6                                 // 0000000083EC: D1050006 20000D42
	v_mul_f32_e64 v7, -v67, s6                                 // 0000000083F4: D1050007 20000D43
	v_exp_f32_e32 v4, v4                                       // 0000000083FC: 7E084104
	v_exp_f32_e32 v5, v5                                       // 000000008400: 7E0A4105
	v_exp_f32_e32 v6, v6                                       // 000000008404: 7E0C4106
	v_exp_f32_e32 v7, v7                                       // 000000008408: 7E0E4107
	v_add_f32_e64 v4, v4, 1.0                                  // 00000000840C: D1010004 0001E504
	v_add_f32_e64 v5, v5, 1.0                                  // 000000008414: D1010005 0001E505
	v_add_f32_e64 v6, v6, 1.0                                  // 00000000841C: D1010006 0001E506
	v_add_f32_e64 v7, v7, 1.0                                  // 000000008424: D1010007 0001E507
	v_rcp_f32_e32 v4, v4                                       // 00000000842C: 7E084504
	v_rcp_f32_e32 v5, v5                                       // 000000008430: 7E0A4505
	v_rcp_f32_e32 v6, v6                                       // 000000008434: 7E0C4506
	v_rcp_f32_e32 v7, v7                                       // 000000008438: 7E0E4507
	v_mul_f32_e32 v64, v64, v4                                 // 00000000843C: 0A800940
	v_mul_f32_e32 v65, v65, v5                                 // 000000008440: 0A820B41
	v_mul_f32_e32 v66, v66, v6                                 // 000000008444: 0A840D42
	v_mul_f32_e32 v67, v67, v7                                 // 000000008448: 0A860F43
	v_mul_f32_e32 v64, v64, v96                                // 00000000844C: 0A80C140
	v_mul_f32_e32 v65, v65, v97                                // 000000008450: 0A82C341
	v_mul_f32_e32 v66, v66, v98                                // 000000008454: 0A84C542
	v_mul_f32_e32 v67, v67, v99                                // 000000008458: 0A86C743
	v_mul_f32_e64 v4, -v68, s6                                 // 00000000845C: D1050004 20000D44
	v_mul_f32_e64 v5, -v69, s6                                 // 000000008464: D1050005 20000D45
	v_mul_f32_e64 v6, -v70, s6                                 // 00000000846C: D1050006 20000D46
	v_mul_f32_e64 v7, -v71, s6                                 // 000000008474: D1050007 20000D47
	v_exp_f32_e32 v4, v4                                       // 00000000847C: 7E084104
	v_exp_f32_e32 v5, v5                                       // 000000008480: 7E0A4105
	v_exp_f32_e32 v6, v6                                       // 000000008484: 7E0C4106
	v_exp_f32_e32 v7, v7                                       // 000000008488: 7E0E4107
	v_add_f32_e64 v4, v4, 1.0                                  // 00000000848C: D1010004 0001E504
	v_add_f32_e64 v5, v5, 1.0                                  // 000000008494: D1010005 0001E505
	v_add_f32_e64 v6, v6, 1.0                                  // 00000000849C: D1010006 0001E506
	v_add_f32_e64 v7, v7, 1.0                                  // 0000000084A4: D1010007 0001E507
	v_rcp_f32_e32 v4, v4                                       // 0000000084AC: 7E084504
	v_rcp_f32_e32 v5, v5                                       // 0000000084B0: 7E0A4505
	v_rcp_f32_e32 v6, v6                                       // 0000000084B4: 7E0C4506
	v_rcp_f32_e32 v7, v7                                       // 0000000084B8: 7E0E4507
	v_mul_f32_e32 v68, v68, v4                                 // 0000000084BC: 0A880944
	v_mul_f32_e32 v69, v69, v5                                 // 0000000084C0: 0A8A0B45
	v_mul_f32_e32 v70, v70, v6                                 // 0000000084C4: 0A8C0D46
	v_mul_f32_e32 v71, v71, v7                                 // 0000000084C8: 0A8E0F47
	v_mul_f32_e32 v68, v68, v100                               // 0000000084CC: 0A88C944
	v_mul_f32_e32 v69, v69, v101                               // 0000000084D0: 0A8ACB45
	v_mul_f32_e32 v70, v70, v102                               // 0000000084D4: 0A8CCD46
	v_mul_f32_e32 v71, v71, v103                               // 0000000084D8: 0A8ECF47
	v_mul_f32_e64 v4, -v72, s6                                 // 0000000084DC: D1050004 20000D48
	v_mul_f32_e64 v5, -v73, s6                                 // 0000000084E4: D1050005 20000D49
	v_mul_f32_e64 v6, -v74, s6                                 // 0000000084EC: D1050006 20000D4A
	v_mul_f32_e64 v7, -v75, s6                                 // 0000000084F4: D1050007 20000D4B
	v_exp_f32_e32 v4, v4                                       // 0000000084FC: 7E084104
	v_exp_f32_e32 v5, v5                                       // 000000008500: 7E0A4105
	v_exp_f32_e32 v6, v6                                       // 000000008504: 7E0C4106
	v_exp_f32_e32 v7, v7                                       // 000000008508: 7E0E4107
	v_add_f32_e64 v4, v4, 1.0                                  // 00000000850C: D1010004 0001E504
	v_add_f32_e64 v5, v5, 1.0                                  // 000000008514: D1010005 0001E505
	v_add_f32_e64 v6, v6, 1.0                                  // 00000000851C: D1010006 0001E506
	v_add_f32_e64 v7, v7, 1.0                                  // 000000008524: D1010007 0001E507
	v_rcp_f32_e32 v4, v4                                       // 00000000852C: 7E084504
	v_rcp_f32_e32 v5, v5                                       // 000000008530: 7E0A4505
	v_rcp_f32_e32 v6, v6                                       // 000000008534: 7E0C4506
	v_rcp_f32_e32 v7, v7                                       // 000000008538: 7E0E4507
	v_mul_f32_e32 v72, v72, v4                                 // 00000000853C: 0A900948
	v_mul_f32_e32 v73, v73, v5                                 // 000000008540: 0A920B49
	v_mul_f32_e32 v74, v74, v6                                 // 000000008544: 0A940D4A
	v_mul_f32_e32 v75, v75, v7                                 // 000000008548: 0A960F4B
	v_mul_f32_e32 v72, v72, v104                               // 00000000854C: 0A90D148
	v_mul_f32_e32 v73, v73, v105                               // 000000008550: 0A92D349
	v_mul_f32_e32 v74, v74, v106                               // 000000008554: 0A94D54A
	v_mul_f32_e32 v75, v75, v107                               // 000000008558: 0A96D74B
	v_mul_f32_e64 v4, -v76, s6                                 // 00000000855C: D1050004 20000D4C
	v_mul_f32_e64 v5, -v77, s6                                 // 000000008564: D1050005 20000D4D
	v_mul_f32_e64 v6, -v78, s6                                 // 00000000856C: D1050006 20000D4E
	v_mul_f32_e64 v7, -v79, s6                                 // 000000008574: D1050007 20000D4F
	v_exp_f32_e32 v4, v4                                       // 00000000857C: 7E084104
	v_exp_f32_e32 v5, v5                                       // 000000008580: 7E0A4105
	v_exp_f32_e32 v6, v6                                       // 000000008584: 7E0C4106
	v_exp_f32_e32 v7, v7                                       // 000000008588: 7E0E4107
	v_add_f32_e64 v4, v4, 1.0                                  // 00000000858C: D1010004 0001E504
	v_add_f32_e64 v5, v5, 1.0                                  // 000000008594: D1010005 0001E505
	v_add_f32_e64 v6, v6, 1.0                                  // 00000000859C: D1010006 0001E506
	v_add_f32_e64 v7, v7, 1.0                                  // 0000000085A4: D1010007 0001E507
	v_rcp_f32_e32 v4, v4                                       // 0000000085AC: 7E084504
	v_rcp_f32_e32 v5, v5                                       // 0000000085B0: 7E0A4505
	v_rcp_f32_e32 v6, v6                                       // 0000000085B4: 7E0C4506
	v_rcp_f32_e32 v7, v7                                       // 0000000085B8: 7E0E4507
	v_mul_f32_e32 v76, v76, v4                                 // 0000000085BC: 0A98094C
	v_mul_f32_e32 v77, v77, v5                                 // 0000000085C0: 0A9A0B4D
	v_mul_f32_e32 v78, v78, v6                                 // 0000000085C4: 0A9C0D4E
	v_mul_f32_e32 v79, v79, v7                                 // 0000000085C8: 0A9E0F4F
	v_mul_f32_e32 v76, v76, v108                               // 0000000085CC: 0A98D94C
	v_mul_f32_e32 v77, v77, v109                               // 0000000085D0: 0A9ADB4D
	v_mul_f32_e32 v78, v78, v110                               // 0000000085D4: 0A9CDD4E
	v_mul_f32_e32 v79, v79, v111                               // 0000000085D8: 0A9EDF4F

00000000000085dc <label_16FA>:
	v_cmp_u_f32_e64 s[46:47], v48, v48                         // 0000000085DC: D048002E 00026130
	v_add3_u32 v16, v48, v19, 1                                // 0000000085E4: D1FF0010 02062730
	v_cndmask_b32_e64 v4, v16, v18, s[46:47]                   // 0000000085EC: D1000004 00BA2510
	v_cmp_u_f32_e64 s[46:47], v49, v49                         // 0000000085F4: D048002E 00026331
	v_add3_u32 v16, v49, v19, 1                                // 0000000085FC: D1FF0010 02062731
	v_cndmask_b32_e64 v5, v16, v18, s[46:47]                   // 000000008604: D1000005 00BA2510
	v_perm_b32 v48, v5, v4, s52                                // 00000000860C: D1ED0030 00D20905
	v_cmp_u_f32_e64 s[46:47], v50, v50                         // 000000008614: D048002E 00026532
	v_add3_u32 v16, v50, v19, 1                                // 00000000861C: D1FF0010 02062732
	v_cndmask_b32_e64 v4, v16, v18, s[46:47]                   // 000000008624: D1000004 00BA2510
	v_cmp_u_f32_e64 s[46:47], v51, v51                         // 00000000862C: D048002E 00026733
	v_add3_u32 v16, v51, v19, 1                                // 000000008634: D1FF0010 02062733
	v_cndmask_b32_e64 v5, v16, v18, s[46:47]                   // 00000000863C: D1000005 00BA2510
	v_perm_b32 v49, v5, v4, s52                                // 000000008644: D1ED0031 00D20905
	v_cmp_u_f32_e64 s[46:47], v52, v52                         // 00000000864C: D048002E 00026934
	v_add3_u32 v16, v52, v19, 1                                // 000000008654: D1FF0010 02062734
	v_cndmask_b32_e64 v4, v16, v18, s[46:47]                   // 00000000865C: D1000004 00BA2510
	v_cmp_u_f32_e64 s[46:47], v53, v53                         // 000000008664: D048002E 00026B35
	v_add3_u32 v16, v53, v19, 1                                // 00000000866C: D1FF0010 02062735
	v_cndmask_b32_e64 v5, v16, v18, s[46:47]                   // 000000008674: D1000005 00BA2510
	v_perm_b32 v50, v5, v4, s52                                // 00000000867C: D1ED0032 00D20905
	v_cmp_u_f32_e64 s[46:47], v54, v54                         // 000000008684: D048002E 00026D36
	v_add3_u32 v16, v54, v19, 1                                // 00000000868C: D1FF0010 02062736
	v_cndmask_b32_e64 v4, v16, v18, s[46:47]                   // 000000008694: D1000004 00BA2510
	v_cmp_u_f32_e64 s[46:47], v55, v55                         // 00000000869C: D048002E 00026F37
	v_add3_u32 v16, v55, v19, 1                                // 0000000086A4: D1FF0010 02062737
	v_cndmask_b32_e64 v5, v16, v18, s[46:47]                   // 0000000086AC: D1000005 00BA2510
	v_perm_b32 v51, v5, v4, s52                                // 0000000086B4: D1ED0033 00D20905
	v_cmp_u_f32_e64 s[46:47], v56, v56                         // 0000000086BC: D048002E 00027138
	v_add3_u32 v16, v56, v19, 1                                // 0000000086C4: D1FF0010 02062738
	v_cndmask_b32_e64 v4, v16, v18, s[46:47]                   // 0000000086CC: D1000004 00BA2510
	v_cmp_u_f32_e64 s[46:47], v57, v57                         // 0000000086D4: D048002E 00027339
	v_add3_u32 v16, v57, v19, 1                                // 0000000086DC: D1FF0010 02062739
	v_cndmask_b32_e64 v5, v16, v18, s[46:47]                   // 0000000086E4: D1000005 00BA2510
	v_perm_b32 v52, v5, v4, s52                                // 0000000086EC: D1ED0034 00D20905
	v_cmp_u_f32_e64 s[46:47], v58, v58                         // 0000000086F4: D048002E 0002753A
	v_add3_u32 v16, v58, v19, 1                                // 0000000086FC: D1FF0010 0206273A
	v_cndmask_b32_e64 v4, v16, v18, s[46:47]                   // 000000008704: D1000004 00BA2510
	v_cmp_u_f32_e64 s[46:47], v59, v59                         // 00000000870C: D048002E 0002773B
	v_add3_u32 v16, v59, v19, 1                                // 000000008714: D1FF0010 0206273B
	v_cndmask_b32_e64 v5, v16, v18, s[46:47]                   // 00000000871C: D1000005 00BA2510
	v_perm_b32 v53, v5, v4, s52                                // 000000008724: D1ED0035 00D20905
	v_cmp_u_f32_e64 s[46:47], v60, v60                         // 00000000872C: D048002E 0002793C
	v_add3_u32 v16, v60, v19, 1                                // 000000008734: D1FF0010 0206273C
	v_cndmask_b32_e64 v4, v16, v18, s[46:47]                   // 00000000873C: D1000004 00BA2510
	v_cmp_u_f32_e64 s[46:47], v61, v61                         // 000000008744: D048002E 00027B3D
	v_add3_u32 v16, v61, v19, 1                                // 00000000874C: D1FF0010 0206273D
	v_cndmask_b32_e64 v5, v16, v18, s[46:47]                   // 000000008754: D1000005 00BA2510
	v_perm_b32 v54, v5, v4, s52                                // 00000000875C: D1ED0036 00D20905
	v_cmp_u_f32_e64 s[46:47], v62, v62                         // 000000008764: D048002E 00027D3E
	v_add3_u32 v16, v62, v19, 1                                // 00000000876C: D1FF0010 0206273E
	v_cndmask_b32_e64 v4, v16, v18, s[46:47]                   // 000000008774: D1000004 00BA2510
	v_cmp_u_f32_e64 s[46:47], v63, v63                         // 00000000877C: D048002E 00027F3F
	v_add3_u32 v16, v63, v19, 1                                // 000000008784: D1FF0010 0206273F
	v_cndmask_b32_e64 v5, v16, v18, s[46:47]                   // 00000000878C: D1000005 00BA2510
	v_perm_b32 v55, v5, v4, s52                                // 000000008794: D1ED0037 00D20905
	v_cmp_u_f32_e64 s[46:47], v64, v64                         // 00000000879C: D048002E 00028140
	v_add3_u32 v16, v64, v19, 1                                // 0000000087A4: D1FF0010 02062740
	v_cndmask_b32_e64 v4, v16, v18, s[46:47]                   // 0000000087AC: D1000004 00BA2510
	v_cmp_u_f32_e64 s[46:47], v65, v65                         // 0000000087B4: D048002E 00028341
	v_add3_u32 v16, v65, v19, 1                                // 0000000087BC: D1FF0010 02062741
	v_cndmask_b32_e64 v5, v16, v18, s[46:47]                   // 0000000087C4: D1000005 00BA2510
	v_perm_b32 v56, v5, v4, s52                                // 0000000087CC: D1ED0038 00D20905
	v_cmp_u_f32_e64 s[46:47], v66, v66                         // 0000000087D4: D048002E 00028542
	v_add3_u32 v16, v66, v19, 1                                // 0000000087DC: D1FF0010 02062742
	v_cndmask_b32_e64 v4, v16, v18, s[46:47]                   // 0000000087E4: D1000004 00BA2510
	v_cmp_u_f32_e64 s[46:47], v67, v67                         // 0000000087EC: D048002E 00028743
	v_add3_u32 v16, v67, v19, 1                                // 0000000087F4: D1FF0010 02062743
	v_cndmask_b32_e64 v5, v16, v18, s[46:47]                   // 0000000087FC: D1000005 00BA2510
	v_perm_b32 v57, v5, v4, s52                                // 000000008804: D1ED0039 00D20905
	v_cmp_u_f32_e64 s[46:47], v68, v68                         // 00000000880C: D048002E 00028944
	v_add3_u32 v16, v68, v19, 1                                // 000000008814: D1FF0010 02062744
	v_cndmask_b32_e64 v4, v16, v18, s[46:47]                   // 00000000881C: D1000004 00BA2510
	v_cmp_u_f32_e64 s[46:47], v69, v69                         // 000000008824: D048002E 00028B45
	v_add3_u32 v16, v69, v19, 1                                // 00000000882C: D1FF0010 02062745
	v_cndmask_b32_e64 v5, v16, v18, s[46:47]                   // 000000008834: D1000005 00BA2510
	v_perm_b32 v58, v5, v4, s52                                // 00000000883C: D1ED003A 00D20905
	v_cmp_u_f32_e64 s[46:47], v70, v70                         // 000000008844: D048002E 00028D46
	v_add3_u32 v16, v70, v19, 1                                // 00000000884C: D1FF0010 02062746
	v_cndmask_b32_e64 v4, v16, v18, s[46:47]                   // 000000008854: D1000004 00BA2510
	v_cmp_u_f32_e64 s[46:47], v71, v71                         // 00000000885C: D048002E 00028F47
	v_add3_u32 v16, v71, v19, 1                                // 000000008864: D1FF0010 02062747
	v_cndmask_b32_e64 v5, v16, v18, s[46:47]                   // 00000000886C: D1000005 00BA2510
	v_perm_b32 v59, v5, v4, s52                                // 000000008874: D1ED003B 00D20905
	v_cmp_u_f32_e64 s[46:47], v72, v72                         // 00000000887C: D048002E 00029148
	v_add3_u32 v16, v72, v19, 1                                // 000000008884: D1FF0010 02062748
	v_cndmask_b32_e64 v4, v16, v18, s[46:47]                   // 00000000888C: D1000004 00BA2510
	v_cmp_u_f32_e64 s[46:47], v73, v73                         // 000000008894: D048002E 00029349
	v_add3_u32 v16, v73, v19, 1                                // 00000000889C: D1FF0010 02062749
	v_cndmask_b32_e64 v5, v16, v18, s[46:47]                   // 0000000088A4: D1000005 00BA2510
	v_perm_b32 v60, v5, v4, s52                                // 0000000088AC: D1ED003C 00D20905
	v_cmp_u_f32_e64 s[46:47], v74, v74                         // 0000000088B4: D048002E 0002954A
	v_add3_u32 v16, v74, v19, 1                                // 0000000088BC: D1FF0010 0206274A
	v_cndmask_b32_e64 v4, v16, v18, s[46:47]                   // 0000000088C4: D1000004 00BA2510
	v_cmp_u_f32_e64 s[46:47], v75, v75                         // 0000000088CC: D048002E 0002974B
	v_add3_u32 v16, v75, v19, 1                                // 0000000088D4: D1FF0010 0206274B
	v_cndmask_b32_e64 v5, v16, v18, s[46:47]                   // 0000000088DC: D1000005 00BA2510
	v_perm_b32 v61, v5, v4, s52                                // 0000000088E4: D1ED003D 00D20905
	v_cmp_u_f32_e64 s[46:47], v76, v76                         // 0000000088EC: D048002E 0002994C
	v_add3_u32 v16, v76, v19, 1                                // 0000000088F4: D1FF0010 0206274C
	v_cndmask_b32_e64 v4, v16, v18, s[46:47]                   // 0000000088FC: D1000004 00BA2510
	v_cmp_u_f32_e64 s[46:47], v77, v77                         // 000000008904: D048002E 00029B4D
	v_add3_u32 v16, v77, v19, 1                                // 00000000890C: D1FF0010 0206274D
	v_cndmask_b32_e64 v5, v16, v18, s[46:47]                   // 000000008914: D1000005 00BA2510
	v_perm_b32 v62, v5, v4, s52                                // 00000000891C: D1ED003E 00D20905
	v_cmp_u_f32_e64 s[46:47], v78, v78                         // 000000008924: D048002E 00029D4E
	v_add3_u32 v16, v78, v19, 1                                // 00000000892C: D1FF0010 0206274E
	v_cndmask_b32_e64 v4, v16, v18, s[46:47]                   // 000000008934: D1000004 00BA2510
	v_cmp_u_f32_e64 s[46:47], v79, v79                         // 00000000893C: D048002E 00029F4F
	v_add3_u32 v16, v79, v19, 1                                // 000000008944: D1FF0010 0206274F
	v_cndmask_b32_e64 v5, v16, v18, s[46:47]                   // 00000000894C: D1000005 00BA2510
	v_perm_b32 v63, v5, v4, s52                                // 000000008954: D1ED003F 00D20905
	ds_write_b64 v20, v[48:49]                                 // 00000000895C: D89A0000 00003014
	ds_write_b64 v20, v[50:51] offset:8704                     // 000000008964: D89A2200 00003214
	ds_write_b64 v20, v[52:53] offset:2176                     // 00000000896C: D89A0880 00003414
	ds_write_b64 v20, v[54:55] offset:10880                    // 000000008974: D89A2A80 00003614
	ds_write_b64 v20, v[56:57] offset:4352                     // 00000000897C: D89A1100 00003814
	ds_write_b64 v20, v[58:59] offset:13056                    // 000000008984: D89A3300 00003A14
	ds_write_b64 v20, v[60:61] offset:6528                     // 00000000898C: D89A1980 00003C14
	ds_write_b64 v20, v[62:63] offset:15232                    // 000000008994: D89A3B80 00003E14
	v_lshrrev_b32_e32 v4, 5, v0                                // 00000000899C: 20080085
	v_xor_b32_e32 v5, 1, v4                                    // 0000000089A0: 2A0A0881
	s_mul_i32 s60, s65, 2                                      // 0000000089A4: 923C8241
	s_cmp_eq_u32 s88, 0                                        // 0000000089A8: BF068058
	s_cselect_b32 s61, 1, 4                                    // 0000000089AC: 853D8481
	s_mul_i32 s60, s61, s60                                    // 0000000089B0: 923C3C3D
	v_readlane_b32 s82, v3, 0                                  // 0000000089B4: D2890052 00010103
	s_lshr_b32 s61, s82, 24                                    // 0000000089BC: 8F3D9852
	s_and_b32 s82, s82, 0xffffff                               // 0000000089C0: 8652FF52 00FFFFFF
	s_mul_i32 s82, s82, s71                                    // 0000000089C8: 92524752
	s_mul_i32 s61, s60, s61                                    // 0000000089CC: 923D3D3C
	s_add_u32 s82, s82, s61                                    // 0000000089D0: 80523D52
	v_mul_lo_u32 v6, v5, s82                                   // 0000000089D4: D2850006 0000A505
	v_readlane_b32 s82, v3, 1                                  // 0000000089DC: D2890052 00010303
	s_lshr_b32 s61, s82, 24                                    // 0000000089E4: 8F3D9852
	s_and_b32 s82, s82, 0xffffff                               // 0000000089E8: 8652FF52 00FFFFFF
	s_mul_i32 s82, s82, s71                                    // 0000000089F0: 92524752
	s_mul_i32 s61, s60, s61                                    // 0000000089F4: 923D3D3C
	s_add_u32 s82, s82, s61                                    // 0000000089F8: 80523D52
	v_mul_lo_u32 v7, v4, s82                                   // 0000000089FC: D2850007 0000A504
	v_add_u32_e32 v38, v6, v7                                  // 000000008A04: 684C0F06
	v_readlane_b32 s82, v3, 2                                  // 000000008A08: D2890052 00010503
	s_lshr_b32 s61, s82, 24                                    // 000000008A10: 8F3D9852
	s_and_b32 s82, s82, 0xffffff                               // 000000008A14: 8652FF52 00FFFFFF
	s_mul_i32 s82, s82, s71                                    // 000000008A1C: 92524752
	s_mul_i32 s61, s60, s61                                    // 000000008A20: 923D3D3C
	s_add_u32 s82, s82, s61                                    // 000000008A24: 80523D52
	v_mul_lo_u32 v6, v5, s82                                   // 000000008A28: D2850006 0000A505
	v_readlane_b32 s82, v3, 3                                  // 000000008A30: D2890052 00010703
	s_lshr_b32 s61, s82, 24                                    // 000000008A38: 8F3D9852
	s_and_b32 s82, s82, 0xffffff                               // 000000008A3C: 8652FF52 00FFFFFF
	s_mul_i32 s82, s82, s71                                    // 000000008A44: 92524752
	s_mul_i32 s61, s60, s61                                    // 000000008A48: 923D3D3C
	s_add_u32 s82, s82, s61                                    // 000000008A4C: 80523D52
	v_mul_lo_u32 v7, v4, s82                                   // 000000008A50: D2850007 0000A504
	v_add_u32_e32 v39, v6, v7                                  // 000000008A58: 684E0F06
	v_readlane_b32 s82, v3, 4                                  // 000000008A5C: D2890052 00010903
	s_lshr_b32 s61, s82, 24                                    // 000000008A64: 8F3D9852
	s_and_b32 s82, s82, 0xffffff                               // 000000008A68: 8652FF52 00FFFFFF
	s_mul_i32 s82, s82, s71                                    // 000000008A70: 92524752
	s_mul_i32 s61, s60, s61                                    // 000000008A74: 923D3D3C
	s_add_u32 s82, s82, s61                                    // 000000008A78: 80523D52
	v_mul_lo_u32 v6, v5, s82                                   // 000000008A7C: D2850006 0000A505
	v_readlane_b32 s82, v3, 5                                  // 000000008A84: D2890052 00010B03
	s_lshr_b32 s61, s82, 24                                    // 000000008A8C: 8F3D9852
	s_and_b32 s82, s82, 0xffffff                               // 000000008A90: 8652FF52 00FFFFFF
	s_mul_i32 s82, s82, s71                                    // 000000008A98: 92524752
	s_mul_i32 s61, s60, s61                                    // 000000008A9C: 923D3D3C
	s_add_u32 s82, s82, s61                                    // 000000008AA0: 80523D52
	v_mul_lo_u32 v7, v4, s82                                   // 000000008AA4: D2850007 0000A504
	v_add_u32_e32 v40, v6, v7                                  // 000000008AAC: 68500F06
	v_readlane_b32 s82, v3, 6                                  // 000000008AB0: D2890052 00010D03
	s_lshr_b32 s61, s82, 24                                    // 000000008AB8: 8F3D9852
	s_and_b32 s82, s82, 0xffffff                               // 000000008ABC: 8652FF52 00FFFFFF
	s_mul_i32 s82, s82, s71                                    // 000000008AC4: 92524752
	s_mul_i32 s61, s60, s61                                    // 000000008AC8: 923D3D3C
	s_add_u32 s82, s82, s61                                    // 000000008ACC: 80523D52
	v_mul_lo_u32 v6, v5, s82                                   // 000000008AD0: D2850006 0000A505
	v_readlane_b32 s82, v3, 7                                  // 000000008AD8: D2890052 00010F03
	s_lshr_b32 s61, s82, 24                                    // 000000008AE0: 8F3D9852
	s_and_b32 s82, s82, 0xffffff                               // 000000008AE4: 8652FF52 00FFFFFF
	s_mul_i32 s82, s82, s71                                    // 000000008AEC: 92524752
	s_mul_i32 s61, s60, s61                                    // 000000008AF0: 923D3D3C
	s_add_u32 s82, s82, s61                                    // 000000008AF4: 80523D52
	v_mul_lo_u32 v7, v4, s82                                   // 000000008AF8: D2850007 0000A504
	v_add_u32_e32 v41, v6, v7                                  // 000000008B00: 68520F06
	v_and_b32_e32 v4, 31, v0                                   // 000000008B04: 2608009F
	v_lshrrev_b32_e32 v4, 1, v4                                // 000000008B08: 20080881
	s_cmp_eq_u32 s88, 0                                        // 000000008B0C: BF068058
	s_cselect_b32 s61, 2, 4                                    // 000000008B10: 853D8482
	v_mul_lo_u32 v4, v4, s61                                   // 000000008B14: D2850004 00007B04
	v_and_b32_e64 v5, v0, 1                                    // 000000008B1C: D1130005 00010300
	v_add_u32_e32 v4, v4, v5                                   // 000000008B24: 68080B04
	v_lshlrev_b32_e32 v4, 2, v4                                // 000000008B28: 24080882
	v_add_u32_e32 v38, v38, v4                                 // 000000008B2C: 684C0926
	v_add_u32_e32 v39, v39, v4                                 // 000000008B30: 684E0927
	v_add_u32_e32 v40, v40, v4                                 // 000000008B34: 68500928
	v_add_u32_e32 v41, v41, v4                                 // 000000008B38: 68520929
	s_waitcnt lgkmcnt(0)                                       // 000000008B3C: BF8CC07F
	s_barrier                                                  // 000000008B40: BF8A0000
	ds_read_b32 v48, v21                                       // 000000008B44: D86C0000 30000015
	ds_read_b32 v49, v21 offset:64                             // 000000008B4C: D86C0040 31000015
	ds_read_b32 v50, v21 offset:2176                           // 000000008B54: D86C0880 32000015
	ds_read_b32 v51, v21 offset:2240                           // 000000008B5C: D86C08C0 33000015
	ds_read_b32 v52, v21 offset:4352                           // 000000008B64: D86C1100 34000015
	ds_read_b32 v53, v21 offset:4416                           // 000000008B6C: D86C1140 35000015
	ds_read_b32 v54, v21 offset:6528                           // 000000008B74: D86C1980 36000015
	ds_read_b32 v55, v21 offset:6592                           // 000000008B7C: D86C19C0 37000015
	ds_read_b32 v56, v21 offset:8704                           // 000000008B84: D86C2200 38000015
	ds_read_b32 v57, v21 offset:8768                           // 000000008B8C: D86C2240 39000015
	ds_read_b32 v58, v21 offset:10880                          // 000000008B94: D86C2A80 3A000015
	ds_read_b32 v59, v21 offset:10944                          // 000000008B9C: D86C2AC0 3B000015
	ds_read_b32 v60, v21 offset:13056                          // 000000008BA4: D86C3300 3C000015
	ds_read_b32 v61, v21 offset:13120                          // 000000008BAC: D86C3340 3D000015
	ds_read_b32 v62, v21 offset:15232                          // 000000008BB4: D86C3B80 3E000015
	ds_read_b32 v63, v21 offset:15296                          // 000000008BBC: D86C3BC0 3F000015
	s_waitcnt lgkmcnt(0)                                       // 000000008BC4: BF8CC07F
	s_mov_b32 s36, -1                                          // 000000008BC8: BEA400C1
	s_mov_b32 s37, -1                                          // 000000008BCC: BEA500C1
	v_mov_b32_e32 v7, 0                                        // 000000008BD0: 7E0E0280
	s_or_b32 s9, s9, 0x40000                                   // 000000008BD4: 8709FF09 00040000
	s_mov_b64 exec, s[36:37]                                   // 000000008BDC: BEFE0124
	v_mov_b32_e32 v6, v38                                      // 000000008BE0: 7E0C0326
	s_mov_b64 s[60:61], 0                                      // 000000008BE4: BEBC0180
	v_readlane_b32 s82, v3, 0                                  // 000000008BE8: D2890052 00010103
	s_and_b32 s82, s82, 0xffffff                               // 000000008BF0: 8652FF52 00FFFFFF
	s_cmp_lt_u32 s82, s66                                      // 000000008BF8: BF0A4252
	s_cselect_b32 s20, s36, s60                                // 000000008BFC: 85143C24
	v_readlane_b32 s82, v3, 1                                  // 000000008C00: D2890052 00010303
	s_and_b32 s82, s82, 0xffffff                               // 000000008C08: 8652FF52 00FFFFFF
	s_cmp_lt_u32 s82, s66                                      // 000000008C10: BF0A4252
	s_cselect_b32 s21, s36, s60                                // 000000008C14: 85153C24
	s_mov_b64 exec, s[20:21]                                   // 000000008C18: BEFE0114
	buffer_store_dword v48, v6, s[8:11], 0 offen               // 000000008C1C: E0701000 80023006
	buffer_store_dword v50, v6, s[8:11], 0 offen offset:128    // 000000008C24: E0701080 80023206
	buffer_store_dword v52, v6, s[8:11], 0 offen offset:256    // 000000008C2C: E0701100 80023406
	buffer_store_dword v54, v6, s[8:11], 0 offen offset:384    // 000000008C34: E0701180 80023606
	s_mov_b64 exec, s[36:37]                                   // 000000008C3C: BEFE0124
	v_mov_b32_e32 v6, v39                                      // 000000008C40: 7E0C0327
	s_mov_b64 s[60:61], 0                                      // 000000008C44: BEBC0180
	v_readlane_b32 s82, v3, 2                                  // 000000008C48: D2890052 00010503
	s_and_b32 s82, s82, 0xffffff                               // 000000008C50: 8652FF52 00FFFFFF
	s_cmp_lt_u32 s82, s66                                      // 000000008C58: BF0A4252
	s_cselect_b32 s20, s36, s60                                // 000000008C5C: 85143C24
	v_readlane_b32 s82, v3, 3                                  // 000000008C60: D2890052 00010703
	s_and_b32 s82, s82, 0xffffff                               // 000000008C68: 8652FF52 00FFFFFF
	s_cmp_lt_u32 s82, s66                                      // 000000008C70: BF0A4252
	s_cselect_b32 s21, s36, s60                                // 000000008C74: 85153C24
	s_mov_b64 exec, s[20:21]                                   // 000000008C78: BEFE0114
	buffer_store_dword v49, v6, s[8:11], 0 offen               // 000000008C7C: E0701000 80023106
	buffer_store_dword v51, v6, s[8:11], 0 offen offset:128    // 000000008C84: E0701080 80023306
	buffer_store_dword v53, v6, s[8:11], 0 offen offset:256    // 000000008C8C: E0701100 80023506
	buffer_store_dword v55, v6, s[8:11], 0 offen offset:384    // 000000008C94: E0701180 80023706
	s_mov_b64 exec, s[36:37]                                   // 000000008C9C: BEFE0124
	v_mov_b32_e32 v6, v40                                      // 000000008CA0: 7E0C0328
	s_mov_b64 s[60:61], 0                                      // 000000008CA4: BEBC0180
	v_readlane_b32 s82, v3, 4                                  // 000000008CA8: D2890052 00010903
	s_and_b32 s82, s82, 0xffffff                               // 000000008CB0: 8652FF52 00FFFFFF
	s_cmp_lt_u32 s82, s66                                      // 000000008CB8: BF0A4252
	s_cselect_b32 s20, s36, s60                                // 000000008CBC: 85143C24
	v_readlane_b32 s82, v3, 5                                  // 000000008CC0: D2890052 00010B03
	s_and_b32 s82, s82, 0xffffff                               // 000000008CC8: 8652FF52 00FFFFFF
	s_cmp_lt_u32 s82, s66                                      // 000000008CD0: BF0A4252
	s_cselect_b32 s21, s36, s60                                // 000000008CD4: 85153C24
	s_mov_b64 exec, s[20:21]                                   // 000000008CD8: BEFE0114
	buffer_store_dword v56, v6, s[8:11], 0 offen               // 000000008CDC: E0701000 80023806
	buffer_store_dword v58, v6, s[8:11], 0 offen offset:128    // 000000008CE4: E0701080 80023A06
	buffer_store_dword v60, v6, s[8:11], 0 offen offset:256    // 000000008CEC: E0701100 80023C06
	buffer_store_dword v62, v6, s[8:11], 0 offen offset:384    // 000000008CF4: E0701180 80023E06
	s_mov_b64 exec, s[36:37]                                   // 000000008CFC: BEFE0124
	v_mov_b32_e32 v6, v41                                      // 000000008D00: 7E0C0329
	s_mov_b64 s[60:61], 0                                      // 000000008D04: BEBC0180
	v_readlane_b32 s82, v3, 6                                  // 000000008D08: D2890052 00010D03
	s_and_b32 s82, s82, 0xffffff                               // 000000008D10: 8652FF52 00FFFFFF
	s_cmp_lt_u32 s82, s66                                      // 000000008D18: BF0A4252
	s_cselect_b32 s20, s36, s60                                // 000000008D1C: 85143C24
	v_readlane_b32 s82, v3, 7                                  // 000000008D20: D2890052 00010F03
	s_and_b32 s82, s82, 0xffffff                               // 000000008D28: 8652FF52 00FFFFFF
	s_cmp_lt_u32 s82, s66                                      // 000000008D30: BF0A4252
	s_cselect_b32 s21, s36, s60                                // 000000008D34: 85153C24
	s_mov_b64 exec, s[20:21]                                   // 000000008D38: BEFE0114
	buffer_store_dword v57, v6, s[8:11], 0 offen               // 000000008D3C: E0701000 80023906
	buffer_store_dword v59, v6, s[8:11], 0 offen offset:128    // 000000008D44: E0701080 80023B06
	buffer_store_dword v61, v6, s[8:11], 0 offen offset:256    // 000000008D4C: E0701100 80023D06
	buffer_store_dword v63, v6, s[8:11], 0 offen offset:384    // 000000008D54: E0701180 80023F06
	s_mov_b64 exec, s[36:37]                                   // 000000008D5C: BEFE0124
	s_branch label_1B9E                                        // 000000008D60: BF8202C2

0000000000008d64 <label_18DC>:
	ds_write_b64 v20, v[48:49]                                 // 000000008D64: D89A0000 00003014
	ds_write_b64 v20, v[52:53] offset:8704                     // 000000008D6C: D89A2200 00003414
	ds_write_b64 v20, v[56:57] offset:2176                     // 000000008D74: D89A0880 00003814
	ds_write_b64 v20, v[60:61] offset:10880                    // 000000008D7C: D89A2A80 00003C14
	ds_write_b64 v20, v[64:65] offset:4352                     // 000000008D84: D89A1100 00004014
	ds_write_b64 v20, v[68:69] offset:13056                    // 000000008D8C: D89A3300 00004414
	ds_write_b64 v20, v[72:73] offset:6528                     // 000000008D94: D89A1980 00004814
	ds_write_b64 v20, v[76:77] offset:15232                    // 000000008D9C: D89A3B80 00004C14
	v_lshrrev_b32_e32 v4, 5, v0                                // 000000008DA4: 20080085
	v_xor_b32_e32 v5, 1, v4                                    // 000000008DA8: 2A0A0881
	s_mul_i32 s60, s65, 2                                      // 000000008DAC: 923C8241
	s_cmp_eq_u32 s88, 0                                        // 000000008DB0: BF068058
	s_cselect_b32 s61, 1, 4                                    // 000000008DB4: 853D8481
	s_mul_i32 s60, s61, s60                                    // 000000008DB8: 923C3C3D
	v_readlane_b32 s82, v3, 0                                  // 000000008DBC: D2890052 00010103
	s_lshr_b32 s61, s82, 24                                    // 000000008DC4: 8F3D9852
	s_and_b32 s82, s82, 0xffffff                               // 000000008DC8: 8652FF52 00FFFFFF
	s_mul_i32 s82, s82, s71                                    // 000000008DD0: 92524752
	s_mul_i32 s61, s60, s61                                    // 000000008DD4: 923D3D3C
	s_add_u32 s82, s82, s61                                    // 000000008DD8: 80523D52
	v_mul_lo_u32 v6, v5, s82                                   // 000000008DDC: D2850006 0000A505
	v_readlane_b32 s82, v3, 1                                  // 000000008DE4: D2890052 00010303
	s_lshr_b32 s61, s82, 24                                    // 000000008DEC: 8F3D9852
	s_and_b32 s82, s82, 0xffffff                               // 000000008DF0: 8652FF52 00FFFFFF
	s_mul_i32 s82, s82, s71                                    // 000000008DF8: 92524752
	s_mul_i32 s61, s60, s61                                    // 000000008DFC: 923D3D3C
	s_add_u32 s82, s82, s61                                    // 000000008E00: 80523D52
	v_mul_lo_u32 v7, v4, s82                                   // 000000008E04: D2850007 0000A504
	v_add_u32_e32 v38, v6, v7                                  // 000000008E0C: 684C0F06
	v_readlane_b32 s82, v3, 2                                  // 000000008E10: D2890052 00010503
	s_lshr_b32 s61, s82, 24                                    // 000000008E18: 8F3D9852
	s_and_b32 s82, s82, 0xffffff                               // 000000008E1C: 8652FF52 00FFFFFF
	s_mul_i32 s82, s82, s71                                    // 000000008E24: 92524752
	s_mul_i32 s61, s60, s61                                    // 000000008E28: 923D3D3C
	s_add_u32 s82, s82, s61                                    // 000000008E2C: 80523D52
	v_mul_lo_u32 v6, v5, s82                                   // 000000008E30: D2850006 0000A505
	v_readlane_b32 s82, v3, 3                                  // 000000008E38: D2890052 00010703
	s_lshr_b32 s61, s82, 24                                    // 000000008E40: 8F3D9852
	s_and_b32 s82, s82, 0xffffff                               // 000000008E44: 8652FF52 00FFFFFF
	s_mul_i32 s82, s82, s71                                    // 000000008E4C: 92524752
	s_mul_i32 s61, s60, s61                                    // 000000008E50: 923D3D3C
	s_add_u32 s82, s82, s61                                    // 000000008E54: 80523D52
	v_mul_lo_u32 v7, v4, s82                                   // 000000008E58: D2850007 0000A504
	v_add_u32_e32 v39, v6, v7                                  // 000000008E60: 684E0F06
	v_readlane_b32 s82, v3, 4                                  // 000000008E64: D2890052 00010903
	s_lshr_b32 s61, s82, 24                                    // 000000008E6C: 8F3D9852
	s_and_b32 s82, s82, 0xffffff                               // 000000008E70: 8652FF52 00FFFFFF
	s_mul_i32 s82, s82, s71                                    // 000000008E78: 92524752
	s_mul_i32 s61, s60, s61                                    // 000000008E7C: 923D3D3C
	s_add_u32 s82, s82, s61                                    // 000000008E80: 80523D52
	v_mul_lo_u32 v6, v5, s82                                   // 000000008E84: D2850006 0000A505
	v_readlane_b32 s82, v3, 5                                  // 000000008E8C: D2890052 00010B03
	s_lshr_b32 s61, s82, 24                                    // 000000008E94: 8F3D9852
	s_and_b32 s82, s82, 0xffffff                               // 000000008E98: 8652FF52 00FFFFFF
	s_mul_i32 s82, s82, s71                                    // 000000008EA0: 92524752
	s_mul_i32 s61, s60, s61                                    // 000000008EA4: 923D3D3C
	s_add_u32 s82, s82, s61                                    // 000000008EA8: 80523D52
	v_mul_lo_u32 v7, v4, s82                                   // 000000008EAC: D2850007 0000A504
	v_add_u32_e32 v40, v6, v7                                  // 000000008EB4: 68500F06
	v_readlane_b32 s82, v3, 6                                  // 000000008EB8: D2890052 00010D03
	s_lshr_b32 s61, s82, 24                                    // 000000008EC0: 8F3D9852
	s_and_b32 s82, s82, 0xffffff                               // 000000008EC4: 8652FF52 00FFFFFF
	s_mul_i32 s82, s82, s71                                    // 000000008ECC: 92524752
	s_mul_i32 s61, s60, s61                                    // 000000008ED0: 923D3D3C
	s_add_u32 s82, s82, s61                                    // 000000008ED4: 80523D52
	v_mul_lo_u32 v6, v5, s82                                   // 000000008ED8: D2850006 0000A505
	v_readlane_b32 s82, v3, 7                                  // 000000008EE0: D2890052 00010F03
	s_lshr_b32 s61, s82, 24                                    // 000000008EE8: 8F3D9852
	s_and_b32 s82, s82, 0xffffff                               // 000000008EEC: 8652FF52 00FFFFFF
	s_mul_i32 s82, s82, s71                                    // 000000008EF4: 92524752
	s_mul_i32 s61, s60, s61                                    // 000000008EF8: 923D3D3C
	s_add_u32 s82, s82, s61                                    // 000000008EFC: 80523D52
	v_mul_lo_u32 v7, v4, s82                                   // 000000008F00: D2850007 0000A504
	v_add_u32_e32 v41, v6, v7                                  // 000000008F08: 68520F06
	v_and_b32_e32 v4, 31, v0                                   // 000000008F0C: 2608009F
	v_lshrrev_b32_e32 v4, 1, v4                                // 000000008F10: 20080881
	s_cmp_eq_u32 s88, 0                                        // 000000008F14: BF068058
	s_cselect_b32 s61, 2, 4                                    // 000000008F18: 853D8482
	v_mul_lo_u32 v4, v4, s61                                   // 000000008F1C: D2850004 00007B04
	v_and_b32_e64 v5, v0, 1                                    // 000000008F24: D1130005 00010300
	v_add_u32_e32 v4, v4, v5                                   // 000000008F2C: 68080B04
	v_lshlrev_b32_e32 v4, 2, v4                                // 000000008F30: 24080882
	v_add_u32_e32 v38, v38, v4                                 // 000000008F34: 684C0926
	v_add_u32_e32 v39, v39, v4                                 // 000000008F38: 684E0927
	v_add_u32_e32 v40, v40, v4                                 // 000000008F3C: 68500928
	v_add_u32_e32 v41, v41, v4                                 // 000000008F40: 68520929
	s_waitcnt lgkmcnt(0)                                       // 000000008F44: BF8CC07F
	s_barrier                                                  // 000000008F48: BF8A0000
	ds_read_b32 v48, v21                                       // 000000008F4C: D86C0000 30000015
	ds_read_b32 v49, v21 offset:64                             // 000000008F54: D86C0040 31000015
	ds_read_b32 v52, v21 offset:2176                           // 000000008F5C: D86C0880 34000015
	ds_read_b32 v53, v21 offset:2240                           // 000000008F64: D86C08C0 35000015
	ds_read_b32 v56, v21 offset:4352                           // 000000008F6C: D86C1100 38000015
	ds_read_b32 v57, v21 offset:4416                           // 000000008F74: D86C1140 39000015
	ds_read_b32 v60, v21 offset:6528                           // 000000008F7C: D86C1980 3C000015
	ds_read_b32 v61, v21 offset:6592                           // 000000008F84: D86C19C0 3D000015
	ds_read_b32 v64, v21 offset:8704                           // 000000008F8C: D86C2200 40000015
	ds_read_b32 v65, v21 offset:8768                           // 000000008F94: D86C2240 41000015
	ds_read_b32 v68, v21 offset:10880                          // 000000008F9C: D86C2A80 44000015
	ds_read_b32 v69, v21 offset:10944                          // 000000008FA4: D86C2AC0 45000015
	ds_read_b32 v72, v21 offset:13056                          // 000000008FAC: D86C3300 48000015
	ds_read_b32 v73, v21 offset:13120                          // 000000008FB4: D86C3340 49000015
	ds_read_b32 v76, v21 offset:15232                          // 000000008FBC: D86C3B80 4C000015
	ds_read_b32 v77, v21 offset:15296                          // 000000008FC4: D86C3BC0 4D000015
	s_waitcnt lgkmcnt(0)                                       // 000000008FCC: BF8CC07F
	s_mov_b32 s36, -1                                          // 000000008FD0: BEA400C1
	s_mov_b32 s37, -1                                          // 000000008FD4: BEA500C1
	v_mov_b32_e32 v7, 0                                        // 000000008FD8: 7E0E0280
	s_mov_b64 exec, s[36:37]                                   // 000000008FDC: BEFE0124
	v_mov_b32_e32 v6, v38                                      // 000000008FE0: 7E0C0326
	s_mov_b64 s[60:61], 0                                      // 000000008FE4: BEBC0180
	v_readlane_b32 s82, v3, 0                                  // 000000008FE8: D2890052 00010103
	s_and_b32 s82, s82, 0xffffff                               // 000000008FF0: 8652FF52 00FFFFFF
	s_cmp_lt_u32 s82, s66                                      // 000000008FF8: BF0A4252
	s_cselect_b32 s20, s36, s60                                // 000000008FFC: 85143C24
	v_readlane_b32 s82, v3, 1                                  // 000000009000: D2890052 00010303
	s_and_b32 s82, s82, 0xffffff                               // 000000009008: 8652FF52 00FFFFFF
	s_cmp_lt_u32 s82, s66                                      // 000000009010: BF0A4252
	s_cselect_b32 s21, s36, s60                                // 000000009014: 85153C24
	s_mov_b64 exec, s[20:21]                                   // 000000009018: BEFE0114
	global_atomic_add_f32 v6, v48, s[8:9]                      // 00000000901C: DD348000 00083006
	global_atomic_add_f32 v6, v52, s[8:9] offset:256           // 000000009024: DD348100 00083406
	global_atomic_add_f32 v6, v56, s[8:9] offset:512           // 00000000902C: DD348200 00083806
	global_atomic_add_f32 v6, v60, s[8:9] offset:768           // 000000009034: DD348300 00083C06
	s_mov_b64 exec, s[36:37]                                   // 00000000903C: BEFE0124
	v_mov_b32_e32 v6, v39                                      // 000000009040: 7E0C0327
	s_mov_b64 s[60:61], 0                                      // 000000009044: BEBC0180
	v_readlane_b32 s82, v3, 2                                  // 000000009048: D2890052 00010503
	s_and_b32 s82, s82, 0xffffff                               // 000000009050: 8652FF52 00FFFFFF
	s_cmp_lt_u32 s82, s66                                      // 000000009058: BF0A4252
	s_cselect_b32 s20, s36, s60                                // 00000000905C: 85143C24
	v_readlane_b32 s82, v3, 3                                  // 000000009060: D2890052 00010703
	s_and_b32 s82, s82, 0xffffff                               // 000000009068: 8652FF52 00FFFFFF
	s_cmp_lt_u32 s82, s66                                      // 000000009070: BF0A4252
	s_cselect_b32 s21, s36, s60                                // 000000009074: 85153C24
	s_mov_b64 exec, s[20:21]                                   // 000000009078: BEFE0114
	global_atomic_add_f32 v6, v49, s[8:9]                      // 00000000907C: DD348000 00083106
	global_atomic_add_f32 v6, v53, s[8:9] offset:256           // 000000009084: DD348100 00083506
	global_atomic_add_f32 v6, v57, s[8:9] offset:512           // 00000000908C: DD348200 00083906
	global_atomic_add_f32 v6, v61, s[8:9] offset:768           // 000000009094: DD348300 00083D06
	s_mov_b64 exec, s[36:37]                                   // 00000000909C: BEFE0124
	v_mov_b32_e32 v6, v40                                      // 0000000090A0: 7E0C0328
	s_mov_b64 s[60:61], 0                                      // 0000000090A4: BEBC0180
	v_readlane_b32 s82, v3, 4                                  // 0000000090A8: D2890052 00010903
	s_and_b32 s82, s82, 0xffffff                               // 0000000090B0: 8652FF52 00FFFFFF
	s_cmp_lt_u32 s82, s66                                      // 0000000090B8: BF0A4252
	s_cselect_b32 s20, s36, s60                                // 0000000090BC: 85143C24
	v_readlane_b32 s82, v3, 5                                  // 0000000090C0: D2890052 00010B03
	s_and_b32 s82, s82, 0xffffff                               // 0000000090C8: 8652FF52 00FFFFFF
	s_cmp_lt_u32 s82, s66                                      // 0000000090D0: BF0A4252
	s_cselect_b32 s21, s36, s60                                // 0000000090D4: 85153C24
	s_mov_b64 exec, s[20:21]                                   // 0000000090D8: BEFE0114
	global_atomic_add_f32 v6, v64, s[8:9]                      // 0000000090DC: DD348000 00084006
	global_atomic_add_f32 v6, v68, s[8:9] offset:256           // 0000000090E4: DD348100 00084406
	global_atomic_add_f32 v6, v72, s[8:9] offset:512           // 0000000090EC: DD348200 00084806
	global_atomic_add_f32 v6, v76, s[8:9] offset:768           // 0000000090F4: DD348300 00084C06
	s_mov_b64 exec, s[36:37]                                   // 0000000090FC: BEFE0124
	v_mov_b32_e32 v6, v41                                      // 000000009100: 7E0C0329
	s_mov_b64 s[60:61], 0                                      // 000000009104: BEBC0180
	v_readlane_b32 s82, v3, 6                                  // 000000009108: D2890052 00010D03
	s_and_b32 s82, s82, 0xffffff                               // 000000009110: 8652FF52 00FFFFFF
	s_cmp_lt_u32 s82, s66                                      // 000000009118: BF0A4252
	s_cselect_b32 s20, s36, s60                                // 00000000911C: 85143C24
	v_readlane_b32 s82, v3, 7                                  // 000000009120: D2890052 00010F03
	s_and_b32 s82, s82, 0xffffff                               // 000000009128: 8652FF52 00FFFFFF
	s_cmp_lt_u32 s82, s66                                      // 000000009130: BF0A4252
	s_cselect_b32 s21, s36, s60                                // 000000009134: 85153C24
	s_mov_b64 exec, s[20:21]                                   // 000000009138: BEFE0114
	global_atomic_add_f32 v6, v65, s[8:9]                      // 00000000913C: DD348000 00084106
	global_atomic_add_f32 v6, v69, s[8:9] offset:256           // 000000009144: DD348100 00084506
	global_atomic_add_f32 v6, v73, s[8:9] offset:512           // 00000000914C: DD348200 00084906
	global_atomic_add_f32 v6, v77, s[8:9] offset:768           // 000000009154: DD348300 00084D06
	s_mov_b64 exec, s[36:37]                                   // 00000000915C: BEFE0124
	ds_write_b64 v20, v[50:51]                                 // 000000009160: D89A0000 00003214
	ds_write_b64 v20, v[54:55] offset:8704                     // 000000009168: D89A2200 00003614
	ds_write_b64 v20, v[58:59] offset:2176                     // 000000009170: D89A0880 00003A14
	ds_write_b64 v20, v[62:63] offset:10880                    // 000000009178: D89A2A80 00003E14
	ds_write_b64 v20, v[66:67] offset:4352                     // 000000009180: D89A1100 00004214
	ds_write_b64 v20, v[70:71] offset:13056                    // 000000009188: D89A3300 00004614
	ds_write_b64 v20, v[74:75] offset:6528                     // 000000009190: D89A1980 00004A14
	ds_write_b64 v20, v[78:79] offset:15232                    // 000000009198: D89A3B80 00004E14
	s_waitcnt lgkmcnt(0)                                       // 0000000091A0: BF8CC07F
	s_barrier                                                  // 0000000091A4: BF8A0000
	ds_read_b32 v50, v21                                       // 0000000091A8: D86C0000 32000015
	ds_read_b32 v51, v21 offset:64                             // 0000000091B0: D86C0040 33000015
	ds_read_b32 v54, v21 offset:2176                           // 0000000091B8: D86C0880 36000015
	ds_read_b32 v55, v21 offset:2240                           // 0000000091C0: D86C08C0 37000015
	ds_read_b32 v58, v21 offset:4352                           // 0000000091C8: D86C1100 3A000015
	ds_read_b32 v59, v21 offset:4416                           // 0000000091D0: D86C1140 3B000015
	ds_read_b32 v62, v21 offset:6528                           // 0000000091D8: D86C1980 3E000015
	ds_read_b32 v63, v21 offset:6592                           // 0000000091E0: D86C19C0 3F000015
	ds_read_b32 v66, v21 offset:8704                           // 0000000091E8: D86C2200 42000015
	ds_read_b32 v67, v21 offset:8768                           // 0000000091F0: D86C2240 43000015
	ds_read_b32 v70, v21 offset:10880                          // 0000000091F8: D86C2A80 46000015
	ds_read_b32 v71, v21 offset:10944                          // 000000009200: D86C2AC0 47000015
	ds_read_b32 v74, v21 offset:13056                          // 000000009208: D86C3300 4A000015
	ds_read_b32 v75, v21 offset:13120                          // 000000009210: D86C3340 4B000015
	ds_read_b32 v78, v21 offset:15232                          // 000000009218: D86C3B80 4E000015
	ds_read_b32 v79, v21 offset:15296                          // 000000009220: D86C3BC0 4F000015
	s_waitcnt lgkmcnt(0)                                       // 000000009228: BF8CC07F
	v_mov_b32_e32 v7, 0                                        // 00000000922C: 7E0E0280
	s_mov_b64 exec, s[36:37]                                   // 000000009230: BEFE0124
	v_mov_b32_e32 v6, v38                                      // 000000009234: 7E0C0326
	s_mov_b64 s[60:61], 0                                      // 000000009238: BEBC0180
	v_readlane_b32 s82, v3, 0                                  // 00000000923C: D2890052 00010103
	s_and_b32 s82, s82, 0xffffff                               // 000000009244: 8652FF52 00FFFFFF
	s_cmp_lt_u32 s82, s66                                      // 00000000924C: BF0A4252
	s_cselect_b32 s20, s36, s60                                // 000000009250: 85143C24
	v_readlane_b32 s82, v3, 1                                  // 000000009254: D2890052 00010303
	s_and_b32 s82, s82, 0xffffff                               // 00000000925C: 8652FF52 00FFFFFF
	s_cmp_lt_u32 s82, s66                                      // 000000009264: BF0A4252
	s_cselect_b32 s21, s36, s60                                // 000000009268: 85153C24
	s_mov_b64 exec, s[20:21]                                   // 00000000926C: BEFE0114
	global_atomic_add_f32 v6, v50, s[8:9] offset:8             // 000000009270: DD348008 00083206
	global_atomic_add_f32 v6, v54, s[8:9] offset:264           // 000000009278: DD348108 00083606
	global_atomic_add_f32 v6, v58, s[8:9] offset:520           // 000000009280: DD348208 00083A06
	global_atomic_add_f32 v6, v62, s[8:9] offset:776           // 000000009288: DD348308 00083E06
	s_mov_b64 exec, s[36:37]                                   // 000000009290: BEFE0124
	v_mov_b32_e32 v6, v39                                      // 000000009294: 7E0C0327
	s_mov_b64 s[60:61], 0                                      // 000000009298: BEBC0180
	v_readlane_b32 s82, v3, 2                                  // 00000000929C: D2890052 00010503
	s_and_b32 s82, s82, 0xffffff                               // 0000000092A4: 8652FF52 00FFFFFF
	s_cmp_lt_u32 s82, s66                                      // 0000000092AC: BF0A4252
	s_cselect_b32 s20, s36, s60                                // 0000000092B0: 85143C24
	v_readlane_b32 s82, v3, 3                                  // 0000000092B4: D2890052 00010703
	s_and_b32 s82, s82, 0xffffff                               // 0000000092BC: 8652FF52 00FFFFFF
	s_cmp_lt_u32 s82, s66                                      // 0000000092C4: BF0A4252
	s_cselect_b32 s21, s36, s60                                // 0000000092C8: 85153C24
	s_mov_b64 exec, s[20:21]                                   // 0000000092CC: BEFE0114
	global_atomic_add_f32 v6, v51, s[8:9] offset:8             // 0000000092D0: DD348008 00083306
	global_atomic_add_f32 v6, v55, s[8:9] offset:264           // 0000000092D8: DD348108 00083706
	global_atomic_add_f32 v6, v59, s[8:9] offset:520           // 0000000092E0: DD348208 00083B06
	global_atomic_add_f32 v6, v63, s[8:9] offset:776           // 0000000092E8: DD348308 00083F06
	s_mov_b64 exec, s[36:37]                                   // 0000000092F0: BEFE0124
	v_mov_b32_e32 v6, v40                                      // 0000000092F4: 7E0C0328
	s_mov_b64 s[60:61], 0                                      // 0000000092F8: BEBC0180
	v_readlane_b32 s82, v3, 4                                  // 0000000092FC: D2890052 00010903
	s_and_b32 s82, s82, 0xffffff                               // 000000009304: 8652FF52 00FFFFFF
	s_cmp_lt_u32 s82, s66                                      // 00000000930C: BF0A4252
	s_cselect_b32 s20, s36, s60                                // 000000009310: 85143C24
	v_readlane_b32 s82, v3, 5                                  // 000000009314: D2890052 00010B03
	s_and_b32 s82, s82, 0xffffff                               // 00000000931C: 8652FF52 00FFFFFF
	s_cmp_lt_u32 s82, s66                                      // 000000009324: BF0A4252
	s_cselect_b32 s21, s36, s60                                // 000000009328: 85153C24
	s_mov_b64 exec, s[20:21]                                   // 00000000932C: BEFE0114
	global_atomic_add_f32 v6, v66, s[8:9] offset:8             // 000000009330: DD348008 00084206
	global_atomic_add_f32 v6, v70, s[8:9] offset:264           // 000000009338: DD348108 00084606
	global_atomic_add_f32 v6, v74, s[8:9] offset:520           // 000000009340: DD348208 00084A06
	global_atomic_add_f32 v6, v78, s[8:9] offset:776           // 000000009348: DD348308 00084E06
	s_mov_b64 exec, s[36:37]                                   // 000000009350: BEFE0124
	v_mov_b32_e32 v6, v41                                      // 000000009354: 7E0C0329
	s_mov_b64 s[60:61], 0                                      // 000000009358: BEBC0180
	v_readlane_b32 s82, v3, 6                                  // 00000000935C: D2890052 00010D03
	s_and_b32 s82, s82, 0xffffff                               // 000000009364: 8652FF52 00FFFFFF
	s_cmp_lt_u32 s82, s66                                      // 00000000936C: BF0A4252
	s_cselect_b32 s20, s36, s60                                // 000000009370: 85143C24
	v_readlane_b32 s82, v3, 7                                  // 000000009374: D2890052 00010F03
	s_and_b32 s82, s82, 0xffffff                               // 00000000937C: 8652FF52 00FFFFFF
	s_cmp_lt_u32 s82, s66                                      // 000000009384: BF0A4252
	s_cselect_b32 s21, s36, s60                                // 000000009388: 85153C24
	s_mov_b64 exec, s[20:21]                                   // 00000000938C: BEFE0114
	global_atomic_add_f32 v6, v67, s[8:9] offset:8             // 000000009390: DD348008 00084306
	global_atomic_add_f32 v6, v71, s[8:9] offset:264           // 000000009398: DD348108 00084706
	global_atomic_add_f32 v6, v75, s[8:9] offset:520           // 0000000093A0: DD348208 00084B06
	global_atomic_add_f32 v6, v79, s[8:9] offset:776           // 0000000093A8: DD348308 00084F06
	s_mov_b64 exec, s[36:37]                                   // 0000000093B0: BEFE0124
	ds_write_b64 v20, v[80:81]                                 // 0000000093B4: D89A0000 00005014
	ds_write_b64 v20, v[84:85] offset:8704                     // 0000000093BC: D89A2200 00005414
	ds_write_b64 v20, v[88:89] offset:2176                     // 0000000093C4: D89A0880 00005814
	ds_write_b64 v20, v[92:93] offset:10880                    // 0000000093CC: D89A2A80 00005C14
	ds_write_b64 v20, v[96:97] offset:4352                     // 0000000093D4: D89A1100 00006014
	ds_write_b64 v20, v[100:101] offset:13056                  // 0000000093DC: D89A3300 00006414
	ds_write_b64 v20, v[104:105] offset:6528                   // 0000000093E4: D89A1980 00006814
	ds_write_b64 v20, v[108:109] offset:15232                  // 0000000093EC: D89A3B80 00006C14
	s_waitcnt lgkmcnt(0)                                       // 0000000093F4: BF8CC07F
	s_barrier                                                  // 0000000093F8: BF8A0000
	ds_read_b32 v80, v21                                       // 0000000093FC: D86C0000 50000015
	ds_read_b32 v81, v21 offset:64                             // 000000009404: D86C0040 51000015
	ds_read_b32 v84, v21 offset:2176                           // 00000000940C: D86C0880 54000015
	ds_read_b32 v85, v21 offset:2240                           // 000000009414: D86C08C0 55000015
	ds_read_b32 v88, v21 offset:4352                           // 00000000941C: D86C1100 58000015
	ds_read_b32 v89, v21 offset:4416                           // 000000009424: D86C1140 59000015
	ds_read_b32 v92, v21 offset:6528                           // 00000000942C: D86C1980 5C000015
	ds_read_b32 v93, v21 offset:6592                           // 000000009434: D86C19C0 5D000015
	ds_read_b32 v96, v21 offset:8704                           // 00000000943C: D86C2200 60000015
	ds_read_b32 v97, v21 offset:8768                           // 000000009444: D86C2240 61000015
	ds_read_b32 v100, v21 offset:10880                         // 00000000944C: D86C2A80 64000015
	ds_read_b32 v101, v21 offset:10944                         // 000000009454: D86C2AC0 65000015
	ds_read_b32 v104, v21 offset:13056                         // 00000000945C: D86C3300 68000015
	ds_read_b32 v105, v21 offset:13120                         // 000000009464: D86C3340 69000015
	ds_read_b32 v108, v21 offset:15232                         // 00000000946C: D86C3B80 6C000015
	ds_read_b32 v109, v21 offset:15296                         // 000000009474: D86C3BC0 6D000015
	s_mul_i32 s60, s65, 4                                      // 00000000947C: 923C8441
	s_add_u32 s8, s60, s8                                      // 000000009480: 8008083C
	s_addc_u32 s9, 0, s9                                       // 000000009484: 82090980
	s_waitcnt lgkmcnt(0)                                       // 000000009488: BF8CC07F
	v_mov_b32_e32 v7, 0                                        // 00000000948C: 7E0E0280
	s_mov_b64 exec, s[36:37]                                   // 000000009490: BEFE0124
	v_mov_b32_e32 v6, v38                                      // 000000009494: 7E0C0326
	s_mov_b64 s[60:61], 0                                      // 000000009498: BEBC0180
	v_readlane_b32 s82, v3, 0                                  // 00000000949C: D2890052 00010103
	s_and_b32 s82, s82, 0xffffff                               // 0000000094A4: 8652FF52 00FFFFFF
	s_cmp_lt_u32 s82, s66                                      // 0000000094AC: BF0A4252
	s_cselect_b32 s20, s36, s60                                // 0000000094B0: 85143C24
	v_readlane_b32 s82, v3, 1                                  // 0000000094B4: D2890052 00010303
	s_and_b32 s82, s82, 0xffffff                               // 0000000094BC: 8652FF52 00FFFFFF
	s_cmp_lt_u32 s82, s66                                      // 0000000094C4: BF0A4252
	s_cselect_b32 s21, s36, s60                                // 0000000094C8: 85153C24
	s_mov_b64 exec, s[20:21]                                   // 0000000094CC: BEFE0114
	global_atomic_add_f32 v6, v80, s[8:9]                      // 0000000094D0: DD348000 00085006
	global_atomic_add_f32 v6, v84, s[8:9] offset:256           // 0000000094D8: DD348100 00085406
	global_atomic_add_f32 v6, v88, s[8:9] offset:512           // 0000000094E0: DD348200 00085806
	global_atomic_add_f32 v6, v92, s[8:9] offset:768           // 0000000094E8: DD348300 00085C06
	s_mov_b64 exec, s[36:37]                                   // 0000000094F0: BEFE0124
	v_mov_b32_e32 v6, v39                                      // 0000000094F4: 7E0C0327
	s_mov_b64 s[60:61], 0                                      // 0000000094F8: BEBC0180
	v_readlane_b32 s82, v3, 2                                  // 0000000094FC: D2890052 00010503
	s_and_b32 s82, s82, 0xffffff                               // 000000009504: 8652FF52 00FFFFFF
	s_cmp_lt_u32 s82, s66                                      // 00000000950C: BF0A4252
	s_cselect_b32 s20, s36, s60                                // 000000009510: 85143C24
	v_readlane_b32 s82, v3, 3                                  // 000000009514: D2890052 00010703
	s_and_b32 s82, s82, 0xffffff                               // 00000000951C: 8652FF52 00FFFFFF
	s_cmp_lt_u32 s82, s66                                      // 000000009524: BF0A4252
	s_cselect_b32 s21, s36, s60                                // 000000009528: 85153C24
	s_mov_b64 exec, s[20:21]                                   // 00000000952C: BEFE0114
	global_atomic_add_f32 v6, v81, s[8:9]                      // 000000009530: DD348000 00085106
	global_atomic_add_f32 v6, v85, s[8:9] offset:256           // 000000009538: DD348100 00085506
	global_atomic_add_f32 v6, v89, s[8:9] offset:512           // 000000009540: DD348200 00085906
	global_atomic_add_f32 v6, v93, s[8:9] offset:768           // 000000009548: DD348300 00085D06
	s_mov_b64 exec, s[36:37]                                   // 000000009550: BEFE0124
	v_mov_b32_e32 v6, v40                                      // 000000009554: 7E0C0328
	s_mov_b64 s[60:61], 0                                      // 000000009558: BEBC0180
	v_readlane_b32 s82, v3, 4                                  // 00000000955C: D2890052 00010903
	s_and_b32 s82, s82, 0xffffff                               // 000000009564: 8652FF52 00FFFFFF
	s_cmp_lt_u32 s82, s66                                      // 00000000956C: BF0A4252
	s_cselect_b32 s20, s36, s60                                // 000000009570: 85143C24
	v_readlane_b32 s82, v3, 5                                  // 000000009574: D2890052 00010B03
	s_and_b32 s82, s82, 0xffffff                               // 00000000957C: 8652FF52 00FFFFFF
	s_cmp_lt_u32 s82, s66                                      // 000000009584: BF0A4252
	s_cselect_b32 s21, s36, s60                                // 000000009588: 85153C24
	s_mov_b64 exec, s[20:21]                                   // 00000000958C: BEFE0114
	global_atomic_add_f32 v6, v96, s[8:9]                      // 000000009590: DD348000 00086006
	global_atomic_add_f32 v6, v100, s[8:9] offset:256          // 000000009598: DD348100 00086406
	global_atomic_add_f32 v6, v104, s[8:9] offset:512          // 0000000095A0: DD348200 00086806
	global_atomic_add_f32 v6, v108, s[8:9] offset:768          // 0000000095A8: DD348300 00086C06
	s_mov_b64 exec, s[36:37]                                   // 0000000095B0: BEFE0124
	v_mov_b32_e32 v6, v41                                      // 0000000095B4: 7E0C0329
	s_mov_b64 s[60:61], 0                                      // 0000000095B8: BEBC0180
	v_readlane_b32 s82, v3, 6                                  // 0000000095BC: D2890052 00010D03
	s_and_b32 s82, s82, 0xffffff                               // 0000000095C4: 8652FF52 00FFFFFF
	s_cmp_lt_u32 s82, s66                                      // 0000000095CC: BF0A4252
	s_cselect_b32 s20, s36, s60                                // 0000000095D0: 85143C24
	v_readlane_b32 s82, v3, 7                                  // 0000000095D4: D2890052 00010F03
	s_and_b32 s82, s82, 0xffffff                               // 0000000095DC: 8652FF52 00FFFFFF
	s_cmp_lt_u32 s82, s66                                      // 0000000095E4: BF0A4252
	s_cselect_b32 s21, s36, s60                                // 0000000095E8: 85153C24
	s_mov_b64 exec, s[20:21]                                   // 0000000095EC: BEFE0114
	global_atomic_add_f32 v6, v97, s[8:9]                      // 0000000095F0: DD348000 00086106
	global_atomic_add_f32 v6, v101, s[8:9] offset:256          // 0000000095F8: DD348100 00086506
	global_atomic_add_f32 v6, v105, s[8:9] offset:512          // 000000009600: DD348200 00086906
	global_atomic_add_f32 v6, v109, s[8:9] offset:768          // 000000009608: DD348300 00086D06
	s_mov_b64 exec, s[36:37]                                   // 000000009610: BEFE0124
	ds_write_b64 v20, v[82:83]                                 // 000000009614: D89A0000 00005214
	ds_write_b64 v20, v[86:87] offset:8704                     // 00000000961C: D89A2200 00005614
	ds_write_b64 v20, v[90:91] offset:2176                     // 000000009624: D89A0880 00005A14
	ds_write_b64 v20, v[94:95] offset:10880                    // 00000000962C: D89A2A80 00005E14
	ds_write_b64 v20, v[98:99] offset:4352                     // 000000009634: D89A1100 00006214
	ds_write_b64 v20, v[102:103] offset:13056                  // 00000000963C: D89A3300 00006614
	ds_write_b64 v20, v[106:107] offset:6528                   // 000000009644: D89A1980 00006A14
	ds_write_b64 v20, v[110:111] offset:15232                  // 00000000964C: D89A3B80 00006E14
	s_waitcnt lgkmcnt(0)                                       // 000000009654: BF8CC07F
	s_barrier                                                  // 000000009658: BF8A0000
	ds_read_b32 v82, v21                                       // 00000000965C: D86C0000 52000015
	ds_read_b32 v83, v21 offset:64                             // 000000009664: D86C0040 53000015
	ds_read_b32 v86, v21 offset:2176                           // 00000000966C: D86C0880 56000015
	ds_read_b32 v87, v21 offset:2240                           // 000000009674: D86C08C0 57000015
	ds_read_b32 v90, v21 offset:4352                           // 00000000967C: D86C1100 5A000015
	ds_read_b32 v91, v21 offset:4416                           // 000000009684: D86C1140 5B000015
	ds_read_b32 v94, v21 offset:6528                           // 00000000968C: D86C1980 5E000015
	ds_read_b32 v95, v21 offset:6592                           // 000000009694: D86C19C0 5F000015
	ds_read_b32 v98, v21 offset:8704                           // 00000000969C: D86C2200 62000015
	ds_read_b32 v99, v21 offset:8768                           // 0000000096A4: D86C2240 63000015
	ds_read_b32 v102, v21 offset:10880                         // 0000000096AC: D86C2A80 66000015
	ds_read_b32 v103, v21 offset:10944                         // 0000000096B4: D86C2AC0 67000015
	ds_read_b32 v106, v21 offset:13056                         // 0000000096BC: D86C3300 6A000015
	ds_read_b32 v107, v21 offset:13120                         // 0000000096C4: D86C3340 6B000015
	ds_read_b32 v110, v21 offset:15232                         // 0000000096CC: D86C3B80 6E000015
	ds_read_b32 v111, v21 offset:15296                         // 0000000096D4: D86C3BC0 6F000015
	s_waitcnt lgkmcnt(0)                                       // 0000000096DC: BF8CC07F
	v_mov_b32_e32 v7, 0                                        // 0000000096E0: 7E0E0280
	s_mov_b64 exec, s[36:37]                                   // 0000000096E4: BEFE0124
	v_mov_b32_e32 v6, v38                                      // 0000000096E8: 7E0C0326
	s_mov_b64 s[60:61], 0                                      // 0000000096EC: BEBC0180
	v_readlane_b32 s82, v3, 0                                  // 0000000096F0: D2890052 00010103
	s_and_b32 s82, s82, 0xffffff                               // 0000000096F8: 8652FF52 00FFFFFF
	s_cmp_lt_u32 s82, s66                                      // 000000009700: BF0A4252
	s_cselect_b32 s20, s36, s60                                // 000000009704: 85143C24
	v_readlane_b32 s82, v3, 1                                  // 000000009708: D2890052 00010303
	s_and_b32 s82, s82, 0xffffff                               // 000000009710: 8652FF52 00FFFFFF
	s_cmp_lt_u32 s82, s66                                      // 000000009718: BF0A4252
	s_cselect_b32 s21, s36, s60                                // 00000000971C: 85153C24
	s_mov_b64 exec, s[20:21]                                   // 000000009720: BEFE0114
	global_atomic_add_f32 v6, v82, s[8:9] offset:8             // 000000009724: DD348008 00085206
	global_atomic_add_f32 v6, v86, s[8:9] offset:264           // 00000000972C: DD348108 00085606
	global_atomic_add_f32 v6, v90, s[8:9] offset:520           // 000000009734: DD348208 00085A06
	global_atomic_add_f32 v6, v94, s[8:9] offset:776           // 00000000973C: DD348308 00085E06
	s_mov_b64 exec, s[36:37]                                   // 000000009744: BEFE0124
	v_mov_b32_e32 v6, v39                                      // 000000009748: 7E0C0327
	s_mov_b64 s[60:61], 0                                      // 00000000974C: BEBC0180
	v_readlane_b32 s82, v3, 2                                  // 000000009750: D2890052 00010503
	s_and_b32 s82, s82, 0xffffff                               // 000000009758: 8652FF52 00FFFFFF
	s_cmp_lt_u32 s82, s66                                      // 000000009760: BF0A4252
	s_cselect_b32 s20, s36, s60                                // 000000009764: 85143C24
	v_readlane_b32 s82, v3, 3                                  // 000000009768: D2890052 00010703
	s_and_b32 s82, s82, 0xffffff                               // 000000009770: 8652FF52 00FFFFFF
	s_cmp_lt_u32 s82, s66                                      // 000000009778: BF0A4252
	s_cselect_b32 s21, s36, s60                                // 00000000977C: 85153C24
	s_mov_b64 exec, s[20:21]                                   // 000000009780: BEFE0114
	global_atomic_add_f32 v6, v83, s[8:9] offset:8             // 000000009784: DD348008 00085306
	global_atomic_add_f32 v6, v87, s[8:9] offset:264           // 00000000978C: DD348108 00085706
	global_atomic_add_f32 v6, v91, s[8:9] offset:520           // 000000009794: DD348208 00085B06
	global_atomic_add_f32 v6, v95, s[8:9] offset:776           // 00000000979C: DD348308 00085F06
	s_mov_b64 exec, s[36:37]                                   // 0000000097A4: BEFE0124
	v_mov_b32_e32 v6, v40                                      // 0000000097A8: 7E0C0328
	s_mov_b64 s[60:61], 0                                      // 0000000097AC: BEBC0180
	v_readlane_b32 s82, v3, 4                                  // 0000000097B0: D2890052 00010903
	s_and_b32 s82, s82, 0xffffff                               // 0000000097B8: 8652FF52 00FFFFFF
	s_cmp_lt_u32 s82, s66                                      // 0000000097C0: BF0A4252
	s_cselect_b32 s20, s36, s60                                // 0000000097C4: 85143C24
	v_readlane_b32 s82, v3, 5                                  // 0000000097C8: D2890052 00010B03
	s_and_b32 s82, s82, 0xffffff                               // 0000000097D0: 8652FF52 00FFFFFF
	s_cmp_lt_u32 s82, s66                                      // 0000000097D8: BF0A4252
	s_cselect_b32 s21, s36, s60                                // 0000000097DC: 85153C24
	s_mov_b64 exec, s[20:21]                                   // 0000000097E0: BEFE0114
	global_atomic_add_f32 v6, v98, s[8:9] offset:8             // 0000000097E4: DD348008 00086206
	global_atomic_add_f32 v6, v102, s[8:9] offset:264          // 0000000097EC: DD348108 00086606
	global_atomic_add_f32 v6, v106, s[8:9] offset:520          // 0000000097F4: DD348208 00086A06
	global_atomic_add_f32 v6, v110, s[8:9] offset:776          // 0000000097FC: DD348308 00086E06
	s_mov_b64 exec, s[36:37]                                   // 000000009804: BEFE0124
	v_mov_b32_e32 v6, v41                                      // 000000009808: 7E0C0329
	s_mov_b64 s[60:61], 0                                      // 00000000980C: BEBC0180
	v_readlane_b32 s82, v3, 6                                  // 000000009810: D2890052 00010D03
	s_and_b32 s82, s82, 0xffffff                               // 000000009818: 8652FF52 00FFFFFF
	s_cmp_lt_u32 s82, s66                                      // 000000009820: BF0A4252
	s_cselect_b32 s20, s36, s60                                // 000000009824: 85143C24
	v_readlane_b32 s82, v3, 7                                  // 000000009828: D2890052 00010F03
	s_and_b32 s82, s82, 0xffffff                               // 000000009830: 8652FF52 00FFFFFF
	s_cmp_lt_u32 s82, s66                                      // 000000009838: BF0A4252
	s_cselect_b32 s21, s36, s60                                // 00000000983C: 85153C24
	s_mov_b64 exec, s[20:21]                                   // 000000009840: BEFE0114
	global_atomic_add_f32 v6, v99, s[8:9] offset:8             // 000000009844: DD348008 00086306
	global_atomic_add_f32 v6, v103, s[8:9] offset:264          // 00000000984C: DD348108 00086706
	global_atomic_add_f32 v6, v107, s[8:9] offset:520          // 000000009854: DD348208 00086B06
	global_atomic_add_f32 v6, v111, s[8:9] offset:776          // 00000000985C: DD348308 00086F06
	s_mov_b64 exec, s[36:37]                                   // 000000009864: BEFE0124
	s_branch label_1B9E                                        // 000000009868: BF820000

000000000000986c <label_1B9E>:
	s_waitcnt vmcnt(0) expcnt(0) lgkmcnt(0)                    // 00000000986C: BF8C0000
	s_endpgm                                                   // 000000009870: BF810000
